;; amdgpu-corpus repo=FlagOpen/FlagGems kind=triton arch=gfx950 opt=O3 lang=triton
	.amdgcn_target "amdgcn-amd-amdhsa--gfx950"
	.amdhsa_code_object_version 5
	.text
	.globl	_attn_fwd                       ; -- Begin function _attn_fwd
	.p2align	8
	.type	_attn_fwd,@function
_attn_fwd:                              ; @_attn_fwd
.Lfunc_begin0:
	.cfi_sections .debug_frame
	.cfi_startproc
; %bb.231:
	.file	1 "/root/src/amdgpu-assembly/repos/FlagOpen__FlagGems/triton_aot_kernels" "attention_aot.py"
	.loc	1 117 0 prologue_end            ; attention_aot.py:117:0
	s_load_dwordx2 s[2:3], s[0:1], 0x0
	s_load_dwordx8 s[4:11], s[0:1], 0x8
	s_load_dwordx4 s[12:15], s[0:1], 0x28
	s_waitcnt lgkmcnt(0)
	s_branch .LBB0_0
	.loc	1 0 0 is_stmt 0                 ; :0:0
.Ltmp0:
	.p2align	8
; %bb.232:
.LBB0_0:
	s_load_dword s8, s[0:1], 0x8c
.Ltmp1:
	.loc	1 161 25 is_stmt 1              ; attention_aot.py:161:25
	s_abs_i32 s19, s17
	.loc	1 293 21                        ; attention_aot.py:293:21
	v_readfirstlane_b32 s11, v0
	.loc	1 294 26                        ; attention_aot.py:294:26
	s_bfe_u32 s67, s11, 0x30006
	s_load_dword s66, s[0:1], 0x98
	s_load_dwordx4 s[20:23], s[0:1], 0x48
	.loc	1 161 25                        ; attention_aot.py:161:25
	s_waitcnt lgkmcnt(0)
	s_abs_i32 s9, s8
	v_cvt_f32_u32_e32 v1, s9
	s_sub_i32 s24, 0, s9
	s_xor_b32 s18, s17, s8
	s_ashr_i32 s18, s18, 31
	v_rcp_iflag_f32_e32 v1, v1
	.loc	1 175 33                        ; attention_aot.py:175:33
	v_and_b32_e32 v150, 63, v0
	.loc	1 192 35                        ; attention_aot.py:192:35
	s_mul_i32 s28, s67, s23
	.loc	1 191 28                        ; attention_aot.py:191:28
	v_mul_lo_u32 v32, s22, v150
	.loc	1 161 25                        ; attention_aot.py:161:25
	v_mul_f32_e32 v1, 0x4f7ffffe, v1
	v_cvt_u32_f32_e32 v1, v1
	.loc	1 191 10                        ; attention_aot.py:191:10
	v_ashrrev_i32_e32 v33, 31, v32
.Ltmp2:
	.loc	1 51 44                         ; attention_aot.py:51:44 @[ attention_aot.py:258:12 ]
	v_cmp_gt_i32_e32 vcc, s66, v150
	v_mov_b32_e32 v4, 0
.Ltmp3:
	.loc	1 161 25                        ; attention_aot.py:161:25
	v_readfirstlane_b32 s25, v1
	s_mul_i32 s24, s24, s25
	s_mul_hi_u32 s24, s25, s24
	s_add_i32 s25, s25, s24
	s_mul_hi_u32 s24, s19, s25
	s_mul_i32 s25, s24, s9
	s_sub_i32 s19, s19, s25
	s_add_i32 s25, s24, 1
	s_sub_i32 s26, s19, s9
	s_cmp_ge_u32 s19, s9
	s_cselect_b32 s24, s25, s24
	s_cselect_b32 s19, s26, s19
	s_add_i32 s25, s24, 1
	s_cmp_ge_u32 s19, s9
	s_cselect_b32 s9, s25, s24
	s_xor_b32 s9, s9, s18
	s_sub_i32 s64, s9, s18
	.loc	1 162 23                        ; attention_aot.py:162:23
	s_mul_i32 s8, s64, s8
	s_sub_i32 s33, s17, s8
	.loc	1 163 28                        ; attention_aot.py:163:28
	s_ashr_i32 s8, s33, 31
	s_lshr_b32 s8, s8, 30
	s_add_i32 s8, s33, s8
	s_ashr_i32 s8, s8, 2
	.loc	1 172 32                        ; attention_aot.py:172:32
	s_mul_i32 s18, s64, s20
	.loc	1 172 75 is_stmt 0              ; attention_aot.py:172:75
	s_mul_hi_i32 s19, s8, s21
	s_mul_i32 s8, s8, s21
	.loc	1 172 32                        ; attention_aot.py:172:32
	s_mul_hi_i32 s9, s64, s20
	.loc	1 172 49                        ; attention_aot.py:172:49
	s_add_u32 s8, s8, s18
	s_addc_u32 s9, s19, s9
	.loc	1 178 23 is_stmt 1              ; attention_aot.py:178:23
	s_lshl_b32 s16, s16, 7
	.loc	1 190 10                        ; attention_aot.py:190:10
	s_lshl_b64 s[26:27], s[8:9], 1
	s_add_u32 s8, s4, s26
	s_addc_u32 s9, s5, s27
	.loc	1 192 10                        ; attention_aot.py:192:10
	s_ashr_i32 s29, s28, 31
.Ltmp4:
	.loc	1 50 33                         ; attention_aot.py:50:33 @[ attention_aot.py:258:12 ]
	s_cmp_gt_i32 s16, 0
.Ltmp5:
	.loc	1 191 10                        ; attention_aot.py:191:10
	v_lshl_add_u64 v[2:3], v[32:33], 1, s[8:9]
.Ltmp6:
	.loc	1 50 33                         ; attention_aot.py:50:33 @[ attention_aot.py:258:12 ]
	s_cselect_b64 s[24:25], -1, 0
.Ltmp7:
	.loc	1 192 10                        ; attention_aot.py:192:10
	v_lshl_add_u64 v[188:189], s[28:29], 1, v[2:3]
.Ltmp8:
	.loc	1 50 33                         ; attention_aot.py:50:33 @[ attention_aot.py:258:12 ]
	s_and_b64 s[18:19], s[24:25], vcc
	v_mov_b32_e32 v1, 0
	.loc	1 54 22                         ; attention_aot.py:54:22 @[ attention_aot.py:258:12 ]
	s_and_saveexec_b64 s[8:9], s[18:19]
	s_cbranch_execz .LBB0_2
; %bb.1:
	global_load_ushort v4, v[188:189], off
.Ltmp9:
.LBB0_2:
	.loc	1 0 22 is_stmt 0                ; attention_aot.py:0:22
	s_or_b64 exec, exec, s[8:9]
	.loc	1 192 35 is_stmt 1              ; attention_aot.py:192:35
	s_lshl3_add_u32 s30, s23, s28
	.loc	1 192 10 is_stmt 0              ; attention_aot.py:192:10
	s_ashr_i32 s31, s30, 31
	v_lshl_add_u64 v[190:191], s[30:31], 1, v[2:3]
.Ltmp10:
	.loc	1 54 22 is_stmt 1               ; attention_aot.py:54:22 @[ attention_aot.py:258:12 ]
	s_and_saveexec_b64 s[8:9], s[18:19]
	s_cbranch_execz .LBB0_4
; %bb.3:
	global_load_ushort v1, v[190:191], off
.Ltmp11:
.LBB0_4:
	.loc	1 0 22 is_stmt 0                ; attention_aot.py:0:22
	s_or_b64 exec, exec, s[8:9]
	.loc	1 192 35 is_stmt 1              ; attention_aot.py:192:35
	s_lshl4_add_u32 s34, s23, s28
	.loc	1 192 10 is_stmt 0              ; attention_aot.py:192:10
	s_ashr_i32 s35, s34, 31
	v_lshl_add_u64 v[192:193], s[34:35], 1, v[2:3]
	v_mov_b32_e32 v5, 0
	v_mov_b32_e32 v6, 0
.Ltmp12:
	.loc	1 54 22 is_stmt 1               ; attention_aot.py:54:22 @[ attention_aot.py:258:12 ]
	s_and_saveexec_b64 s[8:9], s[18:19]
	s_cbranch_execz .LBB0_6
; %bb.5:
	global_load_ushort v6, v[192:193], off
.Ltmp13:
.LBB0_6:
	.loc	1 0 22 is_stmt 0                ; attention_aot.py:0:22
	s_or_b64 exec, exec, s[8:9]
	.loc	1 192 35 is_stmt 1              ; attention_aot.py:192:35
	s_mul_i32 s8, s23, 24
	s_add_i32 s36, s28, s8
	.loc	1 192 10 is_stmt 0              ; attention_aot.py:192:10
	s_ashr_i32 s37, s36, 31
	v_lshl_add_u64 v[194:195], s[36:37], 1, v[2:3]
.Ltmp14:
	.loc	1 54 22 is_stmt 1               ; attention_aot.py:54:22 @[ attention_aot.py:258:12 ]
	s_and_saveexec_b64 s[8:9], s[18:19]
	s_cbranch_execz .LBB0_8
; %bb.7:
	global_load_ushort v5, v[194:195], off
.Ltmp15:
.LBB0_8:
	.loc	1 0 22 is_stmt 0                ; attention_aot.py:0:22
	s_or_b64 exec, exec, s[8:9]
	.loc	1 192 35 is_stmt 1              ; attention_aot.py:192:35
	s_lshl_b32 s8, s23, 5
	s_add_i32 s38, s28, s8
	.loc	1 192 10 is_stmt 0              ; attention_aot.py:192:10
	s_ashr_i32 s39, s38, 31
	v_lshl_add_u64 v[36:37], s[38:39], 1, v[2:3]
	v_mov_b32_e32 v7, 0
	v_mov_b32_e32 v8, 0
.Ltmp16:
	.loc	1 54 22 is_stmt 1               ; attention_aot.py:54:22 @[ attention_aot.py:258:12 ]
	s_and_saveexec_b64 s[8:9], s[18:19]
	s_cbranch_execz .LBB0_10
; %bb.9:
	global_load_ushort v8, v[36:37], off
.Ltmp17:
.LBB0_10:
	.loc	1 0 22 is_stmt 0                ; attention_aot.py:0:22
	s_or_b64 exec, exec, s[8:9]
	.loc	1 192 35 is_stmt 1              ; attention_aot.py:192:35
	s_mul_i32 s8, s23, 40
	s_add_i32 s40, s28, s8
	.loc	1 192 10 is_stmt 0              ; attention_aot.py:192:10
	s_ashr_i32 s41, s40, 31
	v_lshl_add_u64 v[38:39], s[40:41], 1, v[2:3]
.Ltmp18:
	.loc	1 54 22 is_stmt 1               ; attention_aot.py:54:22 @[ attention_aot.py:258:12 ]
	s_and_saveexec_b64 s[8:9], s[18:19]
	s_cbranch_execz .LBB0_12
; %bb.11:
	global_load_ushort v7, v[38:39], off
.Ltmp19:
.LBB0_12:
	.loc	1 0 22 is_stmt 0                ; attention_aot.py:0:22
	s_or_b64 exec, exec, s[8:9]
	.loc	1 192 35 is_stmt 1              ; attention_aot.py:192:35
	s_mul_i32 s8, s23, 48
	s_add_i32 s42, s28, s8
	.loc	1 192 10 is_stmt 0              ; attention_aot.py:192:10
	s_ashr_i32 s43, s42, 31
	v_lshl_add_u64 v[14:15], s[42:43], 1, v[2:3]
	v_mov_b32_e32 v9, 0
	v_mov_b32_e32 v10, 0
.Ltmp20:
	.loc	1 54 22 is_stmt 1               ; attention_aot.py:54:22 @[ attention_aot.py:258:12 ]
	s_and_saveexec_b64 s[8:9], s[18:19]
	s_cbranch_execz .LBB0_14
; %bb.13:
	global_load_ushort v10, v[14:15], off
.Ltmp21:
.LBB0_14:
	.loc	1 0 22 is_stmt 0                ; attention_aot.py:0:22
	s_or_b64 exec, exec, s[8:9]
	s_load_dwordx2 s[8:9], s[0:1], 0x60
	.loc	1 192 35 is_stmt 1              ; attention_aot.py:192:35
	s_mul_i32 s20, s23, 56
	s_add_i32 s44, s28, s20
	.loc	1 192 10 is_stmt 0              ; attention_aot.py:192:10
	s_ashr_i32 s45, s44, 31
	v_lshl_add_u64 v[2:3], s[44:45], 1, v[2:3]
.Ltmp22:
	.loc	1 54 22 is_stmt 1               ; attention_aot.py:54:22 @[ attention_aot.py:258:12 ]
	s_and_saveexec_b64 s[20:21], s[18:19]
	s_cbranch_execz .LBB0_16
; %bb.15:
	global_load_ushort v9, v[2:3], off
.Ltmp23:
.LBB0_16:
	.loc	1 0 22 is_stmt 0                ; attention_aot.py:0:22
	s_or_b64 exec, exec, s[20:21]
	.loc	1 196 10 is_stmt 1              ; attention_aot.py:196:10
	s_add_u32 s23, s6, s26
	.loc	1 197 28                        ; attention_aot.py:197:28
	s_waitcnt lgkmcnt(0)
	s_mul_i32 s18, s67, s8
	.loc	1 196 10                        ; attention_aot.py:196:10
	s_addc_u32 s65, s7, s27
	.loc	1 197 10                        ; attention_aot.py:197:10
	s_ashr_i32 s19, s18, 31
	s_lshl_b64 s[46:47], s[18:19], 1
	s_add_u32 s20, s23, s46
	s_addc_u32 s21, s65, s47
	.loc	1 198 35                        ; attention_aot.py:198:35
	v_mul_lo_u32 v34, s9, v150
	.loc	1 198 10 is_stmt 0              ; attention_aot.py:198:10
	v_ashrrev_i32_e32 v35, 31, v34
.Ltmp24:
	.loc	1 51 44 is_stmt 1               ; attention_aot.py:51:44 @[ attention_aot.py:258:12 ]
	s_cmp_ge_i32 s67, s66
.Ltmp25:
	.loc	1 198 10                        ; attention_aot.py:198:10
	v_lshl_add_u64 v[12:13], v[34:35], 1, s[20:21]
.Ltmp26:
	.loc	1 51 44                         ; attention_aot.py:51:44 @[ attention_aot.py:258:12 ]
	s_cselect_b64 s[48:49], -1, 0
	.loc	1 50 33                         ; attention_aot.py:50:33 @[ attention_aot.py:258:12 ]
	s_xor_b64 s[20:21], s[24:25], -1
	.loc	1 56 28                         ; attention_aot.py:56:28 @[ attention_aot.py:258:12 ]
	s_or_b64 s[48:49], s[20:21], s[48:49]
	s_and_b64 vcc, exec, s[48:49]
	s_cbranch_vccnz .LBB0_18
; %bb.17:
	global_load_ushort v11, v[12:13], off
	s_branch .LBB0_19
.Ltmp27:
.LBB0_18:
	.loc	1 0 28 is_stmt 0                ; attention_aot.py:0:28
	v_mov_b32_e32 v11, 0
.LBB0_19:
	.loc	1 197 28 is_stmt 1              ; attention_aot.py:197:28
	s_lshl3_add_u32 s48, s8, s18
	.loc	1 197 10 is_stmt 0              ; attention_aot.py:197:10
	s_ashr_i32 s49, s48, 31
	.loc	1 175 33 is_stmt 1              ; attention_aot.py:175:33
	s_or_b32 s68, s67, 8
	.loc	1 197 10                        ; attention_aot.py:197:10
	s_lshl_b64 s[48:49], s[48:49], 1
	s_add_u32 s50, s23, s48
	s_addc_u32 s51, s65, s49
.Ltmp28:
	.loc	1 51 44                         ; attention_aot.py:51:44 @[ attention_aot.py:258:12 ]
	s_cmp_ge_i32 s68, s66
	scratch_store_dwordx2 off, v[12:13], off offset:32 ; 8-byte Folded Spill
.Ltmp29:
	.loc	1 198 10                        ; attention_aot.py:198:10
	v_lshl_add_u64 v[12:13], v[34:35], 1, s[50:51]
.Ltmp30:
	.loc	1 51 44                         ; attention_aot.py:51:44 @[ attention_aot.py:258:12 ]
	s_cselect_b64 s[50:51], -1, 0
	.loc	1 56 28                         ; attention_aot.py:56:28 @[ attention_aot.py:258:12 ]
	s_or_b64 s[50:51], s[20:21], s[50:51]
	s_and_b64 vcc, exec, s[50:51]
	scratch_store_dwordx2 off, v[12:13], off offset:40 ; 8-byte Folded Spill
	s_cbranch_vccnz .LBB0_21
; %bb.20:
	global_load_ushort v12, v[12:13], off
	s_branch .LBB0_22
.Ltmp31:
.LBB0_21:
	.loc	1 0 28 is_stmt 0                ; attention_aot.py:0:28
	v_mov_b32_e32 v12, 0
.LBB0_22:
	.loc	1 197 28 is_stmt 1              ; attention_aot.py:197:28
	s_lshl4_add_u32 s50, s8, s18
	.loc	1 197 10 is_stmt 0              ; attention_aot.py:197:10
	s_ashr_i32 s51, s50, 31
	.loc	1 175 33 is_stmt 1              ; attention_aot.py:175:33
	s_or_b32 s69, s67, 16
	.loc	1 197 10                        ; attention_aot.py:197:10
	s_lshl_b64 s[50:51], s[50:51], 1
	s_add_u32 s52, s23, s50
	s_addc_u32 s53, s65, s51
.Ltmp32:
	.loc	1 51 44                         ; attention_aot.py:51:44 @[ attention_aot.py:258:12 ]
	s_cmp_ge_i32 s69, s66
.Ltmp33:
	.loc	1 198 10                        ; attention_aot.py:198:10
	v_lshl_add_u64 v[16:17], v[34:35], 1, s[52:53]
.Ltmp34:
	.loc	1 51 44                         ; attention_aot.py:51:44 @[ attention_aot.py:258:12 ]
	s_cselect_b64 s[52:53], -1, 0
	.loc	1 56 28                         ; attention_aot.py:56:28 @[ attention_aot.py:258:12 ]
	s_or_b64 s[52:53], s[20:21], s[52:53]
	s_and_b64 vcc, exec, s[52:53]
	s_cbranch_vccnz .LBB0_24
; %bb.23:
	global_load_ushort v13, v[16:17], off
	s_branch .LBB0_25
.Ltmp35:
.LBB0_24:
	.loc	1 0 28 is_stmt 0                ; attention_aot.py:0:28
	v_mov_b32_e32 v13, 0
.LBB0_25:
	.loc	1 197 28 is_stmt 1              ; attention_aot.py:197:28
	s_mul_i32 s9, s8, 24
	s_add_i32 s52, s18, s9
	.loc	1 197 10 is_stmt 0              ; attention_aot.py:197:10
	s_ashr_i32 s53, s52, 31
	.loc	1 175 33 is_stmt 1              ; attention_aot.py:175:33
	s_or_b32 s70, s67, 24
	.loc	1 197 10                        ; attention_aot.py:197:10
	s_lshl_b64 s[52:53], s[52:53], 1
	s_add_u32 s54, s23, s52
	s_addc_u32 s55, s65, s53
.Ltmp36:
	.loc	1 51 44                         ; attention_aot.py:51:44 @[ attention_aot.py:258:12 ]
	s_cmp_ge_i32 s70, s66
.Ltmp37:
	.loc	1 198 10                        ; attention_aot.py:198:10
	v_lshl_add_u64 v[18:19], v[34:35], 1, s[54:55]
.Ltmp38:
	.loc	1 51 44                         ; attention_aot.py:51:44 @[ attention_aot.py:258:12 ]
	s_cselect_b64 s[54:55], -1, 0
	.loc	1 56 28                         ; attention_aot.py:56:28 @[ attention_aot.py:258:12 ]
	s_or_b64 s[54:55], s[20:21], s[54:55]
	s_and_b64 vcc, exec, s[54:55]
	scratch_store_dwordx2 off, v[14:15], off offset:16 ; 8-byte Folded Spill
	scratch_store_dwordx2 off, v[16:17], off offset:48 ; 8-byte Folded Spill
	;; [unrolled: 1-line block ×3, first 2 shown]
	s_cbranch_vccnz .LBB0_27
; %bb.26:
	global_load_ushort v14, v[18:19], off
	s_branch .LBB0_28
.Ltmp39:
.LBB0_27:
	.loc	1 0 28 is_stmt 0                ; attention_aot.py:0:28
	v_mov_b32_e32 v14, 0
.LBB0_28:
	.loc	1 197 28 is_stmt 1              ; attention_aot.py:197:28
	s_lshl_b32 s9, s8, 5
	s_add_i32 s54, s18, s9
	.loc	1 197 10 is_stmt 0              ; attention_aot.py:197:10
	s_ashr_i32 s55, s54, 31
	.loc	1 175 33 is_stmt 1              ; attention_aot.py:175:33
	s_or_b32 s71, s67, 32
	.loc	1 197 10                        ; attention_aot.py:197:10
	s_lshl_b64 s[54:55], s[54:55], 1
	s_add_u32 s56, s23, s54
	s_addc_u32 s57, s65, s55
.Ltmp40:
	.loc	1 51 44                         ; attention_aot.py:51:44 @[ attention_aot.py:258:12 ]
	s_cmp_ge_i32 s71, s66
.Ltmp41:
	.loc	1 198 10                        ; attention_aot.py:198:10
	v_lshl_add_u64 v[72:73], v[34:35], 1, s[56:57]
.Ltmp42:
	.loc	1 51 44                         ; attention_aot.py:51:44 @[ attention_aot.py:258:12 ]
	s_cselect_b64 s[56:57], -1, 0
	.loc	1 56 28                         ; attention_aot.py:56:28 @[ attention_aot.py:258:12 ]
	s_or_b64 s[56:57], s[20:21], s[56:57]
	s_and_b64 vcc, exec, s[56:57]
	s_cbranch_vccnz .LBB0_30
; %bb.29:
	global_load_ushort v15, v[72:73], off
	s_branch .LBB0_31
.Ltmp43:
.LBB0_30:
	.loc	1 0 28 is_stmt 0                ; attention_aot.py:0:28
	v_mov_b32_e32 v15, 0
.LBB0_31:
	.loc	1 197 28 is_stmt 1              ; attention_aot.py:197:28
	s_mul_i32 s9, s8, 40
	s_add_i32 s56, s18, s9
	.loc	1 197 10 is_stmt 0              ; attention_aot.py:197:10
	s_ashr_i32 s57, s56, 31
	.loc	1 175 33 is_stmt 1              ; attention_aot.py:175:33
	s_or_b32 s72, s67, 40
	.loc	1 197 10                        ; attention_aot.py:197:10
	s_lshl_b64 s[56:57], s[56:57], 1
	s_add_u32 s58, s23, s56
	s_addc_u32 s59, s65, s57
.Ltmp44:
	.loc	1 51 44                         ; attention_aot.py:51:44 @[ attention_aot.py:258:12 ]
	s_cmp_ge_i32 s72, s66
.Ltmp45:
	.loc	1 198 10                        ; attention_aot.py:198:10
	v_lshl_add_u64 v[74:75], v[34:35], 1, s[58:59]
.Ltmp46:
	.loc	1 51 44                         ; attention_aot.py:51:44 @[ attention_aot.py:258:12 ]
	s_cselect_b64 s[58:59], -1, 0
	.loc	1 56 28                         ; attention_aot.py:56:28 @[ attention_aot.py:258:12 ]
	s_or_b64 s[58:59], s[20:21], s[58:59]
	s_and_b64 vcc, exec, s[58:59]
	s_cbranch_vccnz .LBB0_33
; %bb.32:
	global_load_ushort v16, v[74:75], off
	s_branch .LBB0_34
.Ltmp47:
.LBB0_33:
	.loc	1 0 28 is_stmt 0                ; attention_aot.py:0:28
	v_mov_b32_e32 v16, 0
.LBB0_34:
	.loc	1 197 28 is_stmt 1              ; attention_aot.py:197:28
	s_mul_i32 s9, s8, 48
	s_add_i32 s58, s18, s9
	.loc	1 197 10 is_stmt 0              ; attention_aot.py:197:10
	s_ashr_i32 s59, s58, 31
	.loc	1 175 33 is_stmt 1              ; attention_aot.py:175:33
	s_or_b32 s73, s67, 48
	.loc	1 197 10                        ; attention_aot.py:197:10
	s_lshl_b64 s[58:59], s[58:59], 1
	s_add_u32 s60, s23, s58
	s_addc_u32 s61, s65, s59
.Ltmp48:
	.loc	1 51 44                         ; attention_aot.py:51:44 @[ attention_aot.py:258:12 ]
	s_cmp_ge_i32 s73, s66
.Ltmp49:
	.loc	1 198 10                        ; attention_aot.py:198:10
	v_lshl_add_u64 v[76:77], v[34:35], 1, s[60:61]
.Ltmp50:
	.loc	1 51 44                         ; attention_aot.py:51:44 @[ attention_aot.py:258:12 ]
	s_cselect_b64 s[60:61], -1, 0
	.loc	1 56 28                         ; attention_aot.py:56:28 @[ attention_aot.py:258:12 ]
	s_or_b64 s[60:61], s[20:21], s[60:61]
	s_and_b64 vcc, exec, s[60:61]
	s_cbranch_vccnz .LBB0_36
; %bb.35:
	global_load_ushort v17, v[76:77], off
	s_branch .LBB0_37
.Ltmp51:
.LBB0_36:
	.loc	1 0 28 is_stmt 0                ; attention_aot.py:0:28
	v_mov_b32_e32 v17, 0
.LBB0_37:
	.loc	1 197 28 is_stmt 1              ; attention_aot.py:197:28
	s_mul_i32 s60, s8, 56
	s_add_i32 s60, s18, s60
	.loc	1 197 10 is_stmt 0              ; attention_aot.py:197:10
	s_ashr_i32 s61, s60, 31
	.loc	1 175 33 is_stmt 1              ; attention_aot.py:175:33
	s_or_b32 s74, s67, 56
	.loc	1 197 10                        ; attention_aot.py:197:10
	s_lshl_b64 s[60:61], s[60:61], 1
	s_load_dword s9, s[0:1], 0x94
	s_load_dwordx2 s[62:63], s[0:1], 0x38
	s_load_dword s19, s[0:1], 0x44
	s_add_u32 s76, s23, s60
	s_addc_u32 s77, s65, s61
.Ltmp52:
	.loc	1 51 44                         ; attention_aot.py:51:44 @[ attention_aot.py:258:12 ]
	s_cmp_ge_i32 s74, s66
.Ltmp53:
	.loc	1 198 10                        ; attention_aot.py:198:10
	v_lshl_add_u64 v[78:79], v[34:35], 1, s[76:77]
.Ltmp54:
	.loc	1 51 44                         ; attention_aot.py:51:44 @[ attention_aot.py:258:12 ]
	s_cselect_b64 s[76:77], -1, 0
	.loc	1 56 28                         ; attention_aot.py:56:28 @[ attention_aot.py:258:12 ]
	s_or_b64 s[20:21], s[20:21], s[76:77]
	s_and_b64 vcc, exec, s[20:21]
	scratch_store_dwordx2 off, v[2:3], off offset:24 ; 8-byte Folded Spill
	s_cbranch_vccnz .LBB0_39
; %bb.38:
	global_load_ushort v18, v[78:79], off
	s_branch .LBB0_40
.Ltmp55:
.LBB0_39:
	.loc	1 0 28 is_stmt 0                ; attention_aot.py:0:28
	v_mov_b32_e32 v18, 0
.LBB0_40:
	.loc	1 166 32 is_stmt 1              ; attention_aot.py:166:32
	s_waitcnt lgkmcnt(0)
	s_mul_hi_i32 s21, s64, s62
	s_mul_i32 s20, s64, s62
	.loc	1 178 33                        ; attention_aot.py:178:33
	s_or_b32 s76, s67, s16
	.loc	1 184 10                        ; attention_aot.py:184:10
	s_lshl_b64 s[20:21], s[20:21], 1
	s_load_dword s18, s[0:1], 0x40
	.loc	1 166 72                        ; attention_aot.py:166:72
	s_mul_hi_i32 s79, s33, s63
	s_mul_i32 s78, s33, s63
	.loc	1 184 10                        ; attention_aot.py:184:10
	s_add_u32 s20, s2, s20
	s_addc_u32 s21, s3, s21
	s_lshl_b64 s[2:3], s[78:79], 1
	s_add_u32 s2, s20, s2
	s_addc_u32 s3, s21, s3
	.loc	1 186 35                        ; attention_aot.py:186:35
	v_mul_lo_u32 v2, s19, v150
	.loc	1 179 27                        ; attention_aot.py:179:27
	s_cmp_ge_i32 s76, s9
	.loc	1 186 10                        ; attention_aot.py:186:10
	v_ashrrev_i32_e32 v3, 31, v2
	.loc	1 230 20                        ; attention_aot.py:230:20
	s_cbranch_scc1 .LBB0_57
; %bb.41:
	.loc	1 185 28                        ; attention_aot.py:185:28
	s_waitcnt lgkmcnt(0)
	s_mul_i32 s20, s76, s18
	.loc	1 185 10 is_stmt 0              ; attention_aot.py:185:10
	s_ashr_i32 s21, s20, 31
	s_lshl_b64 s[20:21], s[20:21], 1
	s_add_u32 s20, s2, s20
	s_addc_u32 s21, s3, s21
	.loc	1 186 10 is_stmt 1              ; attention_aot.py:186:10
	v_lshl_add_u64 v[20:21], v[2:3], 1, s[20:21]
	.loc	1 230 20                        ; attention_aot.py:230:20
	global_load_ushort v19, v[20:21], off
	.loc	1 178 33                        ; attention_aot.py:178:33
	s_or_b32 s77, s68, s16
	.loc	1 179 27                        ; attention_aot.py:179:27
	s_cmp_ge_i32 s77, s9
	.loc	1 230 20                        ; attention_aot.py:230:20
	s_cbranch_scc0 .LBB0_58
.LBB0_42:
	.loc	1 0 20 is_stmt 0                ; attention_aot.py:0:20
	v_mov_b32_e32 v20, 0
	.loc	1 178 33 is_stmt 1              ; attention_aot.py:178:33
	s_or_b32 s78, s69, s16
	.loc	1 179 27                        ; attention_aot.py:179:27
	s_cmp_ge_i32 s78, s9
	.loc	1 230 20                        ; attention_aot.py:230:20
	s_cbranch_scc0 .LBB0_59
.LBB0_43:
	.loc	1 0 20 is_stmt 0                ; attention_aot.py:0:20
	v_mov_b32_e32 v21, 0
	.loc	1 178 33 is_stmt 1              ; attention_aot.py:178:33
	s_or_b32 s79, s70, s16
	.loc	1 179 27                        ; attention_aot.py:179:27
	s_cmp_ge_i32 s79, s9
	.loc	1 230 20                        ; attention_aot.py:230:20
	s_cbranch_scc0 .LBB0_60
.LBB0_44:
	.loc	1 0 20 is_stmt 0                ; attention_aot.py:0:20
	v_mov_b32_e32 v22, 0
	.loc	1 178 33 is_stmt 1              ; attention_aot.py:178:33
	s_or_b32 s80, s71, s16
	.loc	1 179 27                        ; attention_aot.py:179:27
	s_cmp_ge_i32 s80, s9
	.loc	1 230 20                        ; attention_aot.py:230:20
	s_cbranch_scc0 .LBB0_61
.LBB0_45:
	.loc	1 0 20 is_stmt 0                ; attention_aot.py:0:20
	v_mov_b32_e32 v23, 0
	.loc	1 178 33 is_stmt 1              ; attention_aot.py:178:33
	s_or_b32 s81, s72, s16
	.loc	1 179 27                        ; attention_aot.py:179:27
	s_cmp_ge_i32 s81, s9
	.loc	1 230 20                        ; attention_aot.py:230:20
	s_cbranch_scc0 .LBB0_62
.LBB0_46:
	.loc	1 0 20 is_stmt 0                ; attention_aot.py:0:20
	v_mov_b32_e32 v24, 0
	.loc	1 178 33 is_stmt 1              ; attention_aot.py:178:33
	s_or_b32 s82, s73, s16
	.loc	1 179 27                        ; attention_aot.py:179:27
	s_cmp_ge_i32 s82, s9
	.loc	1 230 20                        ; attention_aot.py:230:20
	s_cbranch_scc0 .LBB0_63
.LBB0_47:
	.loc	1 0 20 is_stmt 0                ; attention_aot.py:0:20
	v_mov_b32_e32 v25, 0
	.loc	1 178 33 is_stmt 1              ; attention_aot.py:178:33
	s_or_b32 s83, s74, s16
	.loc	1 179 27                        ; attention_aot.py:179:27
	s_cmp_ge_i32 s83, s9
	.loc	1 230 20                        ; attention_aot.py:230:20
	s_cbranch_scc0 .LBB0_64
.LBB0_48:
	.loc	1 0 20 is_stmt 0                ; attention_aot.py:0:20
	v_mov_b32_e32 v26, 0
	.loc	1 178 33 is_stmt 1              ; attention_aot.py:178:33
	s_or_b32 s19, s76, 64
	.loc	1 179 27                        ; attention_aot.py:179:27
	s_cmp_ge_i32 s19, s9
	.loc	1 230 20                        ; attention_aot.py:230:20
	s_cbranch_scc0 .LBB0_65
.LBB0_49:
	.loc	1 0 20 is_stmt 0                ; attention_aot.py:0:20
	v_mov_b32_e32 v27, 0
	.loc	1 178 33 is_stmt 1              ; attention_aot.py:178:33
	s_or_b32 s19, s76, 0x48
	.loc	1 179 27                        ; attention_aot.py:179:27
	s_cmp_ge_i32 s19, s9
	.loc	1 230 20                        ; attention_aot.py:230:20
	s_cbranch_scc0 .LBB0_66
.LBB0_50:
	.loc	1 0 20 is_stmt 0                ; attention_aot.py:0:20
	v_mov_b32_e32 v28, 0
	.loc	1 178 33 is_stmt 1              ; attention_aot.py:178:33
	s_or_b32 s19, s76, 0x50
	.loc	1 179 27                        ; attention_aot.py:179:27
	s_cmp_ge_i32 s19, s9
	.loc	1 230 20                        ; attention_aot.py:230:20
	s_cbranch_scc0 .LBB0_67
.LBB0_51:
	.loc	1 0 20 is_stmt 0                ; attention_aot.py:0:20
	v_mov_b32_e32 v29, 0
	.loc	1 178 33 is_stmt 1              ; attention_aot.py:178:33
	s_or_b32 s19, s76, 0x58
	.loc	1 179 27                        ; attention_aot.py:179:27
	s_cmp_ge_i32 s19, s9
	.loc	1 230 20                        ; attention_aot.py:230:20
	s_cbranch_scc0 .LBB0_68
.LBB0_52:
	.loc	1 0 20 is_stmt 0                ; attention_aot.py:0:20
	v_mov_b32_e32 v30, 0
	.loc	1 178 33 is_stmt 1              ; attention_aot.py:178:33
	s_or_b32 s19, s76, 0x60
	.loc	1 179 27                        ; attention_aot.py:179:27
	s_cmp_ge_i32 s19, s9
	.loc	1 230 20                        ; attention_aot.py:230:20
	scratch_store_dwordx2 off, v[36:37], off ; 8-byte Folded Spill
	s_cbranch_scc0 .LBB0_69
.LBB0_53:
	.loc	1 0 20 is_stmt 0                ; attention_aot.py:0:20
	v_mov_b32_e32 v31, 0
	.loc	1 178 33 is_stmt 1              ; attention_aot.py:178:33
	s_or_b32 s19, s76, 0x68
	.loc	1 179 27                        ; attention_aot.py:179:27
	s_cmp_ge_i32 s19, s9
	.loc	1 230 20                        ; attention_aot.py:230:20
	s_cbranch_scc0 .LBB0_70
.LBB0_54:
	.loc	1 0 20 is_stmt 0                ; attention_aot.py:0:20
	v_mov_b32_e32 v36, 0
	.loc	1 178 33 is_stmt 1              ; attention_aot.py:178:33
	s_or_b32 s19, s76, 0x70
	.loc	1 179 27                        ; attention_aot.py:179:27
	s_cmp_ge_i32 s19, s9
	.loc	1 230 20                        ; attention_aot.py:230:20
	scratch_store_dwordx2 off, v[38:39], off offset:8 ; 8-byte Folded Spill
	s_cbranch_scc0 .LBB0_71
.LBB0_55:
	.loc	1 0 20 is_stmt 0                ; attention_aot.py:0:20
	v_mov_b32_e32 v37, 0
	.loc	1 178 33 is_stmt 1              ; attention_aot.py:178:33
	s_or_b32 s19, s76, 0x78
	.loc	1 179 27                        ; attention_aot.py:179:27
	s_cmp_ge_i32 s19, s9
	.loc	1 230 20                        ; attention_aot.py:230:20
	s_cbranch_scc0 .LBB0_72
.LBB0_56:
	.loc	1 0 20 is_stmt 0                ; attention_aot.py:0:20
	v_mov_b32_e32 v2, 0
	.loc	1 230 20                        ; attention_aot.py:230:20
	s_branch .LBB0_73
.LBB0_57:
	.loc	1 0 20                          ; attention_aot.py:0:20
	v_mov_b32_e32 v19, 0
	.loc	1 178 33 is_stmt 1              ; attention_aot.py:178:33
	s_or_b32 s77, s68, s16
	.loc	1 179 27                        ; attention_aot.py:179:27
	s_cmp_ge_i32 s77, s9
	.loc	1 230 20                        ; attention_aot.py:230:20
	s_cbranch_scc1 .LBB0_42
.LBB0_58:
	.loc	1 185 28                        ; attention_aot.py:185:28
	s_waitcnt lgkmcnt(0)
	s_mul_i32 s20, s77, s18
	.loc	1 185 10 is_stmt 0              ; attention_aot.py:185:10
	s_ashr_i32 s21, s20, 31
	s_lshl_b64 s[20:21], s[20:21], 1
	s_add_u32 s20, s2, s20
	s_addc_u32 s21, s3, s21
	.loc	1 186 10 is_stmt 1              ; attention_aot.py:186:10
	v_lshl_add_u64 v[20:21], v[2:3], 1, s[20:21]
	.loc	1 230 20                        ; attention_aot.py:230:20
	global_load_ushort v20, v[20:21], off
	.loc	1 178 33                        ; attention_aot.py:178:33
	s_or_b32 s78, s69, s16
	.loc	1 179 27                        ; attention_aot.py:179:27
	s_cmp_ge_i32 s78, s9
	.loc	1 230 20                        ; attention_aot.py:230:20
	s_cbranch_scc1 .LBB0_43
.LBB0_59:
	.loc	1 185 28                        ; attention_aot.py:185:28
	s_waitcnt lgkmcnt(0)
	s_mul_i32 s20, s78, s18
	.loc	1 185 10 is_stmt 0              ; attention_aot.py:185:10
	s_ashr_i32 s21, s20, 31
	s_lshl_b64 s[20:21], s[20:21], 1
	s_add_u32 s20, s2, s20
	s_addc_u32 s21, s3, s21
	.loc	1 186 10 is_stmt 1              ; attention_aot.py:186:10
	v_lshl_add_u64 v[22:23], v[2:3], 1, s[20:21]
	.loc	1 230 20                        ; attention_aot.py:230:20
	global_load_ushort v21, v[22:23], off
	.loc	1 178 33                        ; attention_aot.py:178:33
	s_or_b32 s79, s70, s16
	.loc	1 179 27                        ; attention_aot.py:179:27
	s_cmp_ge_i32 s79, s9
	.loc	1 230 20                        ; attention_aot.py:230:20
	s_cbranch_scc1 .LBB0_44
.LBB0_60:
	.loc	1 185 28                        ; attention_aot.py:185:28
	s_waitcnt lgkmcnt(0)
	s_mul_i32 s20, s79, s18
	.loc	1 185 10 is_stmt 0              ; attention_aot.py:185:10
	s_ashr_i32 s21, s20, 31
	s_lshl_b64 s[20:21], s[20:21], 1
	s_add_u32 s20, s2, s20
	s_addc_u32 s21, s3, s21
	.loc	1 186 10 is_stmt 1              ; attention_aot.py:186:10
	v_lshl_add_u64 v[22:23], v[2:3], 1, s[20:21]
	.loc	1 230 20                        ; attention_aot.py:230:20
	global_load_ushort v22, v[22:23], off
	.loc	1 178 33                        ; attention_aot.py:178:33
	s_or_b32 s80, s71, s16
	.loc	1 179 27                        ; attention_aot.py:179:27
	s_cmp_ge_i32 s80, s9
	.loc	1 230 20                        ; attention_aot.py:230:20
	s_cbranch_scc1 .LBB0_45
.LBB0_61:
	.loc	1 185 28                        ; attention_aot.py:185:28
	s_waitcnt lgkmcnt(0)
	s_mul_i32 s20, s80, s18
	.loc	1 185 10 is_stmt 0              ; attention_aot.py:185:10
	s_ashr_i32 s21, s20, 31
	s_lshl_b64 s[20:21], s[20:21], 1
	s_add_u32 s20, s2, s20
	s_addc_u32 s21, s3, s21
	.loc	1 186 10 is_stmt 1              ; attention_aot.py:186:10
	v_lshl_add_u64 v[24:25], v[2:3], 1, s[20:21]
	.loc	1 230 20                        ; attention_aot.py:230:20
	global_load_ushort v23, v[24:25], off
	.loc	1 178 33                        ; attention_aot.py:178:33
	s_or_b32 s81, s72, s16
	.loc	1 179 27                        ; attention_aot.py:179:27
	s_cmp_ge_i32 s81, s9
	.loc	1 230 20                        ; attention_aot.py:230:20
	s_cbranch_scc1 .LBB0_46
.LBB0_62:
	.loc	1 185 28                        ; attention_aot.py:185:28
	s_waitcnt lgkmcnt(0)
	s_mul_i32 s20, s81, s18
	.loc	1 185 10 is_stmt 0              ; attention_aot.py:185:10
	s_ashr_i32 s21, s20, 31
	s_lshl_b64 s[20:21], s[20:21], 1
	s_add_u32 s20, s2, s20
	s_addc_u32 s21, s3, s21
	.loc	1 186 10 is_stmt 1              ; attention_aot.py:186:10
	v_lshl_add_u64 v[24:25], v[2:3], 1, s[20:21]
	.loc	1 230 20                        ; attention_aot.py:230:20
	global_load_ushort v24, v[24:25], off
	.loc	1 178 33                        ; attention_aot.py:178:33
	s_or_b32 s82, s73, s16
	.loc	1 179 27                        ; attention_aot.py:179:27
	s_cmp_ge_i32 s82, s9
	.loc	1 230 20                        ; attention_aot.py:230:20
	s_cbranch_scc1 .LBB0_47
.LBB0_63:
	.loc	1 185 28                        ; attention_aot.py:185:28
	s_waitcnt lgkmcnt(0)
	s_mul_i32 s20, s82, s18
	.loc	1 185 10 is_stmt 0              ; attention_aot.py:185:10
	s_ashr_i32 s21, s20, 31
	s_lshl_b64 s[20:21], s[20:21], 1
	s_add_u32 s20, s2, s20
	s_addc_u32 s21, s3, s21
	.loc	1 186 10 is_stmt 1              ; attention_aot.py:186:10
	v_lshl_add_u64 v[26:27], v[2:3], 1, s[20:21]
	.loc	1 230 20                        ; attention_aot.py:230:20
	global_load_ushort v25, v[26:27], off
	.loc	1 178 33                        ; attention_aot.py:178:33
	s_or_b32 s83, s74, s16
	.loc	1 179 27                        ; attention_aot.py:179:27
	s_cmp_ge_i32 s83, s9
	.loc	1 230 20                        ; attention_aot.py:230:20
	s_cbranch_scc1 .LBB0_48
.LBB0_64:
	.loc	1 185 28                        ; attention_aot.py:185:28
	s_waitcnt lgkmcnt(0)
	s_mul_i32 s20, s83, s18
	.loc	1 185 10 is_stmt 0              ; attention_aot.py:185:10
	s_ashr_i32 s21, s20, 31
	s_lshl_b64 s[20:21], s[20:21], 1
	s_add_u32 s20, s2, s20
	s_addc_u32 s21, s3, s21
	.loc	1 186 10 is_stmt 1              ; attention_aot.py:186:10
	v_lshl_add_u64 v[26:27], v[2:3], 1, s[20:21]
	.loc	1 230 20                        ; attention_aot.py:230:20
	global_load_ushort v26, v[26:27], off
	.loc	1 178 33                        ; attention_aot.py:178:33
	s_or_b32 s19, s76, 64
	.loc	1 179 27                        ; attention_aot.py:179:27
	s_cmp_ge_i32 s19, s9
	.loc	1 230 20                        ; attention_aot.py:230:20
	s_cbranch_scc1 .LBB0_49
.LBB0_65:
	.loc	1 185 28                        ; attention_aot.py:185:28
	s_waitcnt lgkmcnt(0)
	s_mul_i32 s20, s19, s18
	.loc	1 185 10 is_stmt 0              ; attention_aot.py:185:10
	s_ashr_i32 s21, s20, 31
	s_lshl_b64 s[20:21], s[20:21], 1
	s_add_u32 s20, s2, s20
	s_addc_u32 s21, s3, s21
	.loc	1 186 10 is_stmt 1              ; attention_aot.py:186:10
	v_lshl_add_u64 v[28:29], v[2:3], 1, s[20:21]
	.loc	1 230 20                        ; attention_aot.py:230:20
	global_load_ushort v27, v[28:29], off
	.loc	1 178 33                        ; attention_aot.py:178:33
	s_or_b32 s19, s76, 0x48
	.loc	1 179 27                        ; attention_aot.py:179:27
	s_cmp_ge_i32 s19, s9
	.loc	1 230 20                        ; attention_aot.py:230:20
	s_cbranch_scc1 .LBB0_50
.LBB0_66:
	.loc	1 185 28                        ; attention_aot.py:185:28
	s_waitcnt lgkmcnt(0)
	s_mul_i32 s20, s19, s18
	.loc	1 185 10 is_stmt 0              ; attention_aot.py:185:10
	s_ashr_i32 s21, s20, 31
	s_lshl_b64 s[20:21], s[20:21], 1
	s_add_u32 s20, s2, s20
	s_addc_u32 s21, s3, s21
	.loc	1 186 10 is_stmt 1              ; attention_aot.py:186:10
	v_lshl_add_u64 v[28:29], v[2:3], 1, s[20:21]
	.loc	1 230 20                        ; attention_aot.py:230:20
	global_load_ushort v28, v[28:29], off
	.loc	1 178 33                        ; attention_aot.py:178:33
	s_or_b32 s19, s76, 0x50
	.loc	1 179 27                        ; attention_aot.py:179:27
	s_cmp_ge_i32 s19, s9
	.loc	1 230 20                        ; attention_aot.py:230:20
	s_cbranch_scc1 .LBB0_51
.LBB0_67:
	.loc	1 185 28                        ; attention_aot.py:185:28
	s_waitcnt lgkmcnt(0)
	s_mul_i32 s20, s19, s18
	.loc	1 185 10 is_stmt 0              ; attention_aot.py:185:10
	s_ashr_i32 s21, s20, 31
	s_lshl_b64 s[20:21], s[20:21], 1
	s_add_u32 s20, s2, s20
	s_addc_u32 s21, s3, s21
	.loc	1 186 10 is_stmt 1              ; attention_aot.py:186:10
	v_lshl_add_u64 v[30:31], v[2:3], 1, s[20:21]
	.loc	1 230 20                        ; attention_aot.py:230:20
	global_load_ushort v29, v[30:31], off
	.loc	1 178 33                        ; attention_aot.py:178:33
	s_or_b32 s19, s76, 0x58
	.loc	1 179 27                        ; attention_aot.py:179:27
	s_cmp_ge_i32 s19, s9
	.loc	1 230 20                        ; attention_aot.py:230:20
	s_cbranch_scc1 .LBB0_52
.LBB0_68:
	.loc	1 185 28                        ; attention_aot.py:185:28
	s_waitcnt lgkmcnt(0)
	s_mul_i32 s20, s19, s18
	.loc	1 185 10 is_stmt 0              ; attention_aot.py:185:10
	s_ashr_i32 s21, s20, 31
	s_lshl_b64 s[20:21], s[20:21], 1
	s_add_u32 s20, s2, s20
	s_addc_u32 s21, s3, s21
	.loc	1 186 10 is_stmt 1              ; attention_aot.py:186:10
	v_lshl_add_u64 v[30:31], v[2:3], 1, s[20:21]
	.loc	1 230 20                        ; attention_aot.py:230:20
	global_load_ushort v30, v[30:31], off
	.loc	1 178 33                        ; attention_aot.py:178:33
	s_or_b32 s19, s76, 0x60
	.loc	1 179 27                        ; attention_aot.py:179:27
	s_cmp_ge_i32 s19, s9
	.loc	1 230 20                        ; attention_aot.py:230:20
	scratch_store_dwordx2 off, v[36:37], off ; 8-byte Folded Spill
	s_cbranch_scc1 .LBB0_53
.LBB0_69:
	.loc	1 185 28                        ; attention_aot.py:185:28
	s_waitcnt lgkmcnt(0)
	s_mul_i32 s20, s19, s18
	.loc	1 185 10 is_stmt 0              ; attention_aot.py:185:10
	s_ashr_i32 s21, s20, 31
	s_lshl_b64 s[20:21], s[20:21], 1
	s_add_u32 s20, s2, s20
	s_addc_u32 s21, s3, s21
	.loc	1 186 10 is_stmt 1              ; attention_aot.py:186:10
	v_lshl_add_u64 v[36:37], v[2:3], 1, s[20:21]
	.loc	1 230 20                        ; attention_aot.py:230:20
	global_load_ushort v31, v[36:37], off
	.loc	1 178 33                        ; attention_aot.py:178:33
	s_or_b32 s19, s76, 0x68
	.loc	1 179 27                        ; attention_aot.py:179:27
	s_cmp_ge_i32 s19, s9
	.loc	1 230 20                        ; attention_aot.py:230:20
	s_cbranch_scc1 .LBB0_54
.LBB0_70:
	.loc	1 185 28                        ; attention_aot.py:185:28
	s_waitcnt lgkmcnt(0)
	s_mul_i32 s20, s19, s18
	.loc	1 185 10 is_stmt 0              ; attention_aot.py:185:10
	s_ashr_i32 s21, s20, 31
	s_lshl_b64 s[20:21], s[20:21], 1
	s_add_u32 s20, s2, s20
	s_addc_u32 s21, s3, s21
	.loc	1 186 10 is_stmt 1              ; attention_aot.py:186:10
	v_lshl_add_u64 v[36:37], v[2:3], 1, s[20:21]
	.loc	1 230 20                        ; attention_aot.py:230:20
	global_load_ushort v36, v[36:37], off
	.loc	1 178 33                        ; attention_aot.py:178:33
	s_or_b32 s19, s76, 0x70
	.loc	1 179 27                        ; attention_aot.py:179:27
	s_cmp_ge_i32 s19, s9
	.loc	1 230 20                        ; attention_aot.py:230:20
	scratch_store_dwordx2 off, v[38:39], off offset:8 ; 8-byte Folded Spill
	s_cbranch_scc1 .LBB0_55
.LBB0_71:
	.loc	1 185 28                        ; attention_aot.py:185:28
	s_waitcnt lgkmcnt(0)
	s_mul_i32 s20, s19, s18
	.loc	1 185 10 is_stmt 0              ; attention_aot.py:185:10
	s_ashr_i32 s21, s20, 31
	s_lshl_b64 s[20:21], s[20:21], 1
	s_add_u32 s20, s2, s20
	s_addc_u32 s21, s3, s21
	.loc	1 186 10 is_stmt 1              ; attention_aot.py:186:10
	v_lshl_add_u64 v[38:39], v[2:3], 1, s[20:21]
	.loc	1 230 20                        ; attention_aot.py:230:20
	global_load_ushort v37, v[38:39], off
	.loc	1 178 33                        ; attention_aot.py:178:33
	s_or_b32 s19, s76, 0x78
	.loc	1 179 27                        ; attention_aot.py:179:27
	s_cmp_ge_i32 s19, s9
	.loc	1 230 20                        ; attention_aot.py:230:20
	s_cbranch_scc1 .LBB0_56
.LBB0_72:
	.loc	1 185 28                        ; attention_aot.py:185:28
	s_waitcnt lgkmcnt(0)
	s_mul_i32 s18, s19, s18
	.loc	1 185 10 is_stmt 0              ; attention_aot.py:185:10
	s_ashr_i32 s19, s18, 31
	s_lshl_b64 s[18:19], s[18:19], 1
	s_add_u32 s2, s2, s18
	s_addc_u32 s3, s3, s19
	.loc	1 186 10 is_stmt 1              ; attention_aot.py:186:10
	v_lshl_add_u64 v[2:3], v[2:3], 1, s[2:3]
	.loc	1 230 20                        ; attention_aot.py:230:20
	global_load_ushort v2, v[2:3], off
.LBB0_73:
	.loc	1 175 33                        ; attention_aot.py:175:33
	s_waitcnt lgkmcnt(0)
	s_lshl_b32 s18, s67, 6
	.loc	1 178 46                        ; attention_aot.py:178:46
	s_and_b32 s65, s18, 0x180
	.loc	1 175 33                        ; attention_aot.py:175:33
	v_or_b32_e32 v151, s18, v150
	.loc	1 178 46                        ; attention_aot.py:178:46
	s_and_b32 s75, s18, 0xc0
	.loc	1 230 20                        ; attention_aot.py:230:20
	v_lshlrev_b32_e32 v3, 1, v151
	s_lshr_b32 s18, s65, 3
	v_xor_b32_e32 v38, s18, v3
	v_add_u32_e32 v146, 0, v38
	s_waitcnt vmcnt(2)
	ds_write_b16 v146, v19
	ds_write_b16 v146, v21 offset:2048
	ds_write_b16 v146, v23 offset:4096
	;; [unrolled: 1-line block ×5, first 2 shown]
	s_waitcnt vmcnt(1)
	ds_write_b16 v146, v31 offset:12288
	s_waitcnt vmcnt(0)
	ds_write_b16 v146, v37 offset:14336
	v_xor_b32_e32 v19, 64, v38
	.loc	1 175 33                        ; attention_aot.py:175:33
	v_and_b32_e32 v112, 32, v0
	.loc	1 178 46                        ; attention_aot.py:178:46
	v_and_b32_e32 v113, 31, v0
	.loc	1 230 20                        ; attention_aot.py:230:20
	v_add_u32_e32 v147, 0, v19
	ds_write_b16 v147, v20 offset:1024
	ds_write_b16 v147, v22 offset:3072
	;; [unrolled: 1-line block ×8, first 2 shown]
	v_lshlrev_b32_e32 v2, 7, v113
	v_lshlrev_b32_e32 v19, 3, v0
	v_lshrrev_b32_e32 v20, 1, v112
	s_movk_i32 s18, 0x70
	v_lshl_or_b32 v2, s75, 6, v2
	v_bitop3_b32 v20, v19, v20, s18 bitop3:0x6c
	v_or_b32_e32 v21, v2, v20
	s_movk_i32 s18, 0x60
	v_add_u32_e32 v22, 0, v21
	v_xad_u32 v23, v21, 32, 0
	v_xad_u32 v21, v21, 64, 0
	v_bitop3_b32 v2, v2, s18, v20 bitop3:0x36
	s_waitcnt lgkmcnt(0)
	s_barrier
	ds_read_b128 v[214:217], v22
	ds_read_b128 v[210:213], v23
	v_add_u32_e32 v2, 0, v2
	ds_read_b128 v[206:209], v21
	ds_read_b128 v[202:205], v2
.Ltmp56:
	.loc	1 56 28                         ; attention_aot.py:56:28 @[ attention_aot.py:258:12 ]
	s_lshr_b32 s18, s65, 4
	.loc	1 54 22                         ; attention_aot.py:54:22 @[ attention_aot.py:258:12 ]
	ds_write_b16 v146, v4 offset:16384
	ds_write_b16 v146, v6 offset:18432
	;; [unrolled: 1-line block ×8, first 2 shown]
	.loc	1 56 28                         ; attention_aot.py:56:28 @[ attention_aot.py:258:12 ]
	v_xor_b32_e32 v1, s18, v3
	v_add_u32_e32 v148, 0, v1
	v_xor_b32_e32 v1, 32, v1
	.loc	1 50 33                         ; attention_aot.py:50:33 @[ attention_aot.py:258:12 ]
	s_sub_i32 s23, s16, 64
.Ltmp57:
	.loc	1 175 33                        ; attention_aot.py:175:33
	v_cmp_eq_u32_e64 s[2:3], 0, v112
	v_lshrrev_b32_e32 v114, 3, v112
.Ltmp58:
	.loc	1 83 29                         ; attention_aot.py:83:29 @[ attention_aot.py:258:12 ]
	v_mov_b32_e32 v2, 0x3fb8aa3b
	.loc	1 56 28                         ; attention_aot.py:56:28 @[ attention_aot.py:258:12 ]
	v_add_u32_e32 v149, 0, v1
	.loc	1 50 33                         ; attention_aot.py:50:33 @[ attention_aot.py:258:12 ]
	s_cmp_gt_i32 s23, 0
	v_lshlrev_b32_e32 v1, 5, v0
	v_and_b32_e32 v152, 24, v19
	v_lshlrev_b32_e32 v153, 1, v0
	v_and_b32_e32 v154, 12, v0
	.loc	1 56 28                         ; attention_aot.py:56:28 @[ attention_aot.py:258:12 ]
	ds_write_b16 v148, v11 offset:24576
	ds_write_b16 v148, v13 offset:26624
	;; [unrolled: 1-line block ×8, first 2 shown]
	.loc	1 50 33                         ; attention_aot.py:50:33 @[ attention_aot.py:258:12 ]
	s_cbranch_scc1 .LBB0_75
; %bb.74:                               ; %.._crit_edge_crit_edge
	.loc	1 54 22                         ; attention_aot.py:54:22 @[ attention_aot.py:258:12 ]
	v_and_b32_e32 v0, 0x580, v1
	v_and_b32_e32 v3, 0x70, v153
	.loc	1 56 28                         ; attention_aot.py:56:28 @[ attention_aot.py:258:12 ]
	v_mov_b32_e32 v4, 0x210
	.loc	1 54 22                         ; attention_aot.py:54:22 @[ attention_aot.py:258:12 ]
	v_bitop3_b32 v159, v0, v3, v152 bitop3:0x36
	.loc	1 56 28                         ; attention_aot.py:56:28 @[ attention_aot.py:258:12 ]
	v_and_b32_e32 v0, 0x48, v151
	v_cndmask_b32_e64 v4, v4, 0, s[2:3]
	v_lshl_or_b32 v5, v154, 5, v152
	v_and_b32_e32 v3, 32, v153
	v_bitop3_b32 v0, v0, v5, v4 bitop3:0x36
	s_movk_i32 s18, 0x420
	.loc	1 54 22                         ; attention_aot.py:54:22 @[ attention_aot.py:258:12 ]
	v_xor_b32_e32 v161, 0x220, v159
	v_xor_b32_e32 v158, 64, v159
	;; [unrolled: 1-line block ×3, first 2 shown]
	.loc	1 56 28                         ; attention_aot.py:56:28 @[ attention_aot.py:258:12 ]
	v_or_b32_e32 v162, v0, v3
	v_bitop3_b32 v163, v0, s18, v3 bitop3:0x36
	s_mov_b64 s[62:63], 0
	s_branch .LBB0_76
.LBB0_75:
	.loc	1 0 28 is_stmt 0                ; attention_aot.py:0:28
	s_mov_b64 s[62:63], -1
                                        ; implicit-def: $vgpr159
                                        ; implicit-def: $vgpr161
                                        ; implicit-def: $vgpr158
                                        ; implicit-def: $vgpr160
                                        ; implicit-def: $vgpr162
                                        ; implicit-def: $vgpr163
.LBB0_76:                               ; %Flow729
	v_or_b32_e32 v142, 1, v114
	v_or_b32_e32 v143, 2, v114
	;; [unrolled: 1-line block ×31, first 2 shown]
	v_mul_f32_e32 v156, s10, v2
	s_lshl_b32 s20, s22, 6
	s_lshl_b32 s18, s8, 6
	s_andn2_b64 vcc, exec, s[62:63]
	v_mov_b32_e32 v155, 0xff800000
	v_mov_b32_e32 v157, 1.0
	s_cbranch_vccnz .LBB0_101
; %bb.77:                               ; %.lr.ph
	.loc	1 51 34 is_stmt 1               ; attention_aot.py:51:34 @[ attention_aot.py:258:12 ]
	v_or_b32_e32 v0, 64, v150
	s_ashr_i32 s21, s20, 31
	.loc	1 51 44 is_stmt 0               ; attention_aot.py:51:44 @[ attention_aot.py:258:12 ]
	v_cmp_gt_i32_e32 vcc, s66, v0
	v_mov_b32_e32 v36, 0
	v_mov_b32_e32 v37, 0
	.loc	1 54 22 is_stmt 1               ; attention_aot.py:54:22 @[ attention_aot.py:258:12 ]
	s_and_saveexec_b64 s[62:63], vcc
	s_cbranch_execz .LBB0_79
; %bb.78:
	.loc	1 108 23                        ; attention_aot.py:108:23 @[ attention_aot.py:258:12 ]
	v_lshl_add_u64 v[2:3], s[20:21], 1, v[188:189]
	.loc	1 54 22                         ; attention_aot.py:54:22 @[ attention_aot.py:258:12 ]
	global_load_ushort v37, v[2:3], off
.LBB0_79:
	.loc	1 0 22 is_stmt 0                ; attention_aot.py:0:22
	s_or_b64 exec, exec, s[62:63]
	.loc	1 54 22                         ; attention_aot.py:54:22 @[ attention_aot.py:258:12 ]
	s_and_saveexec_b64 s[62:63], vcc
	s_cbranch_execz .LBB0_81
; %bb.80:
	.loc	1 108 23 is_stmt 1              ; attention_aot.py:108:23 @[ attention_aot.py:258:12 ]
	v_lshl_add_u64 v[2:3], s[20:21], 1, v[190:191]
	.loc	1 54 22                         ; attention_aot.py:54:22 @[ attention_aot.py:258:12 ]
	global_load_ushort v36, v[2:3], off
.LBB0_81:
	.loc	1 0 22 is_stmt 0                ; attention_aot.py:0:22
	s_or_b64 exec, exec, s[62:63]
	v_mov_b32_e32 v38, 0
	v_mov_b32_e32 v39, 0
	.loc	1 54 22                         ; attention_aot.py:54:22 @[ attention_aot.py:258:12 ]
	s_and_saveexec_b64 s[62:63], vcc
	s_cbranch_execz .LBB0_83
; %bb.82:
	.loc	1 108 23 is_stmt 1              ; attention_aot.py:108:23 @[ attention_aot.py:258:12 ]
	v_lshl_add_u64 v[2:3], s[20:21], 1, v[192:193]
	.loc	1 54 22                         ; attention_aot.py:54:22 @[ attention_aot.py:258:12 ]
	global_load_ushort v39, v[2:3], off
.LBB0_83:
	.loc	1 0 22 is_stmt 0                ; attention_aot.py:0:22
	s_or_b64 exec, exec, s[62:63]
	.loc	1 54 22                         ; attention_aot.py:54:22 @[ attention_aot.py:258:12 ]
	s_and_saveexec_b64 s[62:63], vcc
	s_cbranch_execz .LBB0_85
; %bb.84:
	.loc	1 108 23 is_stmt 1              ; attention_aot.py:108:23 @[ attention_aot.py:258:12 ]
	v_lshl_add_u64 v[2:3], s[20:21], 1, v[194:195]
	.loc	1 54 22                         ; attention_aot.py:54:22 @[ attention_aot.py:258:12 ]
	global_load_ushort v38, v[2:3], off
.LBB0_85:
	.loc	1 0 22 is_stmt 0                ; attention_aot.py:0:22
	s_or_b64 exec, exec, s[62:63]
	v_mov_b32_e32 v40, 0
	v_mov_b32_e32 v41, 0
	.loc	1 54 22                         ; attention_aot.py:54:22 @[ attention_aot.py:258:12 ]
	s_and_saveexec_b64 s[62:63], vcc
	s_cbranch_execz .LBB0_87
; %bb.86:
	.loc	1 108 23 is_stmt 1              ; attention_aot.py:108:23 @[ attention_aot.py:258:12 ]
	scratch_load_dwordx2 v[2:3], off, off   ; 8-byte Folded Reload
	s_waitcnt vmcnt(0)
	v_lshl_add_u64 v[2:3], s[20:21], 1, v[2:3]
	.loc	1 54 22                         ; attention_aot.py:54:22 @[ attention_aot.py:258:12 ]
	global_load_ushort v41, v[2:3], off
.LBB0_87:
	.loc	1 0 22 is_stmt 0                ; attention_aot.py:0:22
	s_or_b64 exec, exec, s[62:63]
	.loc	1 54 22                         ; attention_aot.py:54:22 @[ attention_aot.py:258:12 ]
	s_and_saveexec_b64 s[62:63], vcc
	s_cbranch_execz .LBB0_89
; %bb.88:
	.loc	1 108 23 is_stmt 1              ; attention_aot.py:108:23 @[ attention_aot.py:258:12 ]
	scratch_load_dwordx2 v[2:3], off, off offset:8 ; 8-byte Folded Reload
	s_waitcnt vmcnt(0)
	v_lshl_add_u64 v[2:3], s[20:21], 1, v[2:3]
	.loc	1 54 22                         ; attention_aot.py:54:22 @[ attention_aot.py:258:12 ]
	global_load_ushort v40, v[2:3], off
.LBB0_89:
	.loc	1 0 22 is_stmt 0                ; attention_aot.py:0:22
	s_or_b64 exec, exec, s[62:63]
	v_mov_b32_e32 v42, 0
	v_mov_b32_e32 v43, 0
	.loc	1 54 22                         ; attention_aot.py:54:22 @[ attention_aot.py:258:12 ]
	s_and_saveexec_b64 s[62:63], vcc
	s_cbranch_execz .LBB0_91
; %bb.90:
	.loc	1 108 23 is_stmt 1              ; attention_aot.py:108:23 @[ attention_aot.py:258:12 ]
	scratch_load_dwordx2 v[2:3], off, off offset:16 ; 8-byte Folded Reload
	s_waitcnt vmcnt(0)
	v_lshl_add_u64 v[2:3], s[20:21], 1, v[2:3]
	.loc	1 54 22                         ; attention_aot.py:54:22 @[ attention_aot.py:258:12 ]
	global_load_ushort v43, v[2:3], off
.LBB0_91:
	.loc	1 0 22 is_stmt 0                ; attention_aot.py:0:22
	s_or_b64 exec, exec, s[62:63]
	.loc	1 54 22                         ; attention_aot.py:54:22 @[ attention_aot.py:258:12 ]
	s_and_saveexec_b64 s[62:63], vcc
	s_cbranch_execz .LBB0_93
; %bb.92:
	.loc	1 108 23 is_stmt 1              ; attention_aot.py:108:23 @[ attention_aot.py:258:12 ]
	scratch_load_dwordx2 v[2:3], off, off offset:24 ; 8-byte Folded Reload
	s_waitcnt vmcnt(0)
	v_lshl_add_u64 v[2:3], s[20:21], 1, v[2:3]
	.loc	1 54 22                         ; attention_aot.py:54:22 @[ attention_aot.py:258:12 ]
	global_load_ushort v42, v[2:3], off
.LBB0_93:
	.loc	1 0 22 is_stmt 0                ; attention_aot.py:0:22
	s_or_b64 exec, exec, s[62:63]
	v_and_b32_e32 v0, 0x580, v1
	v_and_b32_e32 v1, 0x70, v153
	v_bitop3_b32 v159, v0, v1, v152 bitop3:0x36
	v_xor_b32_e32 v158, 64, v159
	v_xor_b32_e32 v2, 32, v159
	;; [unrolled: 1-line block ×3, first 2 shown]
	.loc	1 54 22                         ; attention_aot.py:54:22 @[ attention_aot.py:258:12 ]
	v_add_u32_e32 v164, 0, v159
	v_add_u32_e32 v165, 0, v2
	;; [unrolled: 1-line block ×4, first 2 shown]
	s_waitcnt lgkmcnt(0)
	s_barrier
	ds_read_b64_tr_b16 v[12:13], v164 offset:16384
	ds_read_b64_tr_b16 v[8:9], v164 offset:18432
	;; [unrolled: 1-line block ×16, first 2 shown]
	s_ashr_i32 s19, s18, 31
	.loc	1 51 34 is_stmt 1               ; attention_aot.py:51:34 @[ attention_aot.py:258:12 ]
	s_or_b32 s62, s67, 64
	.loc	1 51 44 is_stmt 0               ; attention_aot.py:51:44 @[ attention_aot.py:258:12 ]
	s_cmp_ge_i32 s62, s66
	.loc	1 56 28 is_stmt 1               ; attention_aot.py:56:28 @[ attention_aot.py:258:12 ]
	s_cbranch_scc1 .LBB0_102
; %bb.94:
	.loc	1 109 23                        ; attention_aot.py:109:23 @[ attention_aot.py:258:12 ]
	scratch_load_dwordx2 v[16:17], off, off offset:32 ; 8-byte Folded Reload
	s_waitcnt vmcnt(0)
	v_lshl_add_u64 v[16:17], s[18:19], 1, v[16:17]
	.loc	1 56 28                         ; attention_aot.py:56:28 @[ attention_aot.py:258:12 ]
	global_load_ushort v44, v[16:17], off
	.loc	1 51 34                         ; attention_aot.py:51:34 @[ attention_aot.py:258:12 ]
	s_or_b32 s62, s67, 0x48
	.loc	1 51 44 is_stmt 0               ; attention_aot.py:51:44 @[ attention_aot.py:258:12 ]
	s_cmp_ge_i32 s62, s66
	.loc	1 56 28 is_stmt 1               ; attention_aot.py:56:28 @[ attention_aot.py:258:12 ]
	s_cbranch_scc0 .LBB0_103
.LBB0_95:
	.loc	1 0 28 is_stmt 0                ; attention_aot.py:0:28
	v_mov_b32_e32 v45, 0
	.loc	1 51 34 is_stmt 1               ; attention_aot.py:51:34 @[ attention_aot.py:258:12 ]
	s_or_b32 s62, s67, 0x50
	.loc	1 51 44 is_stmt 0               ; attention_aot.py:51:44 @[ attention_aot.py:258:12 ]
	s_cmp_ge_i32 s62, s66
	.loc	1 56 28 is_stmt 1               ; attention_aot.py:56:28 @[ attention_aot.py:258:12 ]
	s_cbranch_scc0 .LBB0_104
.LBB0_96:
	.loc	1 0 28 is_stmt 0                ; attention_aot.py:0:28
	v_mov_b32_e32 v46, 0
	.loc	1 51 34 is_stmt 1               ; attention_aot.py:51:34 @[ attention_aot.py:258:12 ]
	s_or_b32 s62, s67, 0x58
	.loc	1 51 44 is_stmt 0               ; attention_aot.py:51:44 @[ attention_aot.py:258:12 ]
	s_cmp_ge_i32 s62, s66
	.loc	1 56 28 is_stmt 1               ; attention_aot.py:56:28 @[ attention_aot.py:258:12 ]
	s_cbranch_scc0 .LBB0_105
.LBB0_97:
	.loc	1 0 28 is_stmt 0                ; attention_aot.py:0:28
	v_mov_b32_e32 v47, 0
	.loc	1 51 34 is_stmt 1               ; attention_aot.py:51:34 @[ attention_aot.py:258:12 ]
	s_or_b32 s62, s67, 0x60
	.loc	1 51 44 is_stmt 0               ; attention_aot.py:51:44 @[ attention_aot.py:258:12 ]
	s_cmp_ge_i32 s62, s66
	.loc	1 56 28 is_stmt 1               ; attention_aot.py:56:28 @[ attention_aot.py:258:12 ]
	s_cbranch_scc0 .LBB0_106
.LBB0_98:
	.loc	1 0 28 is_stmt 0                ; attention_aot.py:0:28
	v_mov_b32_e32 v80, 0
	.loc	1 51 34 is_stmt 1               ; attention_aot.py:51:34 @[ attention_aot.py:258:12 ]
	s_or_b32 s62, s67, 0x68
	.loc	1 51 44 is_stmt 0               ; attention_aot.py:51:44 @[ attention_aot.py:258:12 ]
	s_cmp_ge_i32 s62, s66
	.loc	1 56 28 is_stmt 1               ; attention_aot.py:56:28 @[ attention_aot.py:258:12 ]
	s_cbranch_scc0 .LBB0_107
.LBB0_99:
	.loc	1 0 28 is_stmt 0                ; attention_aot.py:0:28
	v_mov_b32_e32 v81, 0
	.loc	1 51 34 is_stmt 1               ; attention_aot.py:51:34 @[ attention_aot.py:258:12 ]
	s_or_b32 s62, s67, 0x70
	.loc	1 51 44 is_stmt 0               ; attention_aot.py:51:44 @[ attention_aot.py:258:12 ]
	s_cmp_ge_i32 s62, s66
	.loc	1 56 28 is_stmt 1               ; attention_aot.py:56:28 @[ attention_aot.py:258:12 ]
	s_cbranch_scc0 .LBB0_108
.LBB0_100:
	.loc	1 0 28 is_stmt 0                ; attention_aot.py:0:28
	v_mov_b32_e32 v82, 0
	.loc	1 56 28                         ; attention_aot.py:56:28 @[ attention_aot.py:258:12 ]
	s_branch .LBB0_109
.LBB0_101:
	.loc	1 0 28                          ; attention_aot.py:0:28
	v_mov_b32_e32 v1, 0
	v_mov_b32_e32 v0, v1
	;; [unrolled: 1-line block ×16, first 2 shown]
	s_branch .LBB0_149
.LBB0_102:
	v_mov_b32_e32 v44, 0
	.loc	1 51 34 is_stmt 1               ; attention_aot.py:51:34 @[ attention_aot.py:258:12 ]
	s_or_b32 s62, s67, 0x48
	.loc	1 51 44 is_stmt 0               ; attention_aot.py:51:44 @[ attention_aot.py:258:12 ]
	s_cmp_ge_i32 s62, s66
	.loc	1 56 28 is_stmt 1               ; attention_aot.py:56:28 @[ attention_aot.py:258:12 ]
	s_cbranch_scc1 .LBB0_95
.LBB0_103:
	.loc	1 109 23                        ; attention_aot.py:109:23 @[ attention_aot.py:258:12 ]
	scratch_load_dwordx2 v[16:17], off, off offset:40 ; 8-byte Folded Reload
	s_waitcnt vmcnt(0)
	v_lshl_add_u64 v[16:17], s[18:19], 1, v[16:17]
	.loc	1 56 28                         ; attention_aot.py:56:28 @[ attention_aot.py:258:12 ]
	global_load_ushort v45, v[16:17], off
	.loc	1 51 34                         ; attention_aot.py:51:34 @[ attention_aot.py:258:12 ]
	s_or_b32 s62, s67, 0x50
	.loc	1 51 44 is_stmt 0               ; attention_aot.py:51:44 @[ attention_aot.py:258:12 ]
	s_cmp_ge_i32 s62, s66
	.loc	1 56 28 is_stmt 1               ; attention_aot.py:56:28 @[ attention_aot.py:258:12 ]
	s_cbranch_scc1 .LBB0_96
.LBB0_104:
	.loc	1 109 23                        ; attention_aot.py:109:23 @[ attention_aot.py:258:12 ]
	scratch_load_dwordx2 v[16:17], off, off offset:48 ; 8-byte Folded Reload
	s_waitcnt vmcnt(0)
	v_lshl_add_u64 v[16:17], s[18:19], 1, v[16:17]
	.loc	1 56 28                         ; attention_aot.py:56:28 @[ attention_aot.py:258:12 ]
	global_load_ushort v46, v[16:17], off
	.loc	1 51 34                         ; attention_aot.py:51:34 @[ attention_aot.py:258:12 ]
	s_or_b32 s62, s67, 0x58
	.loc	1 51 44 is_stmt 0               ; attention_aot.py:51:44 @[ attention_aot.py:258:12 ]
	s_cmp_ge_i32 s62, s66
	.loc	1 56 28 is_stmt 1               ; attention_aot.py:56:28 @[ attention_aot.py:258:12 ]
	s_cbranch_scc1 .LBB0_97
.LBB0_105:
	.loc	1 109 23                        ; attention_aot.py:109:23 @[ attention_aot.py:258:12 ]
	scratch_load_dwordx2 v[16:17], off, off offset:56 ; 8-byte Folded Reload
	s_waitcnt vmcnt(0)
	v_lshl_add_u64 v[16:17], s[18:19], 1, v[16:17]
	.loc	1 56 28                         ; attention_aot.py:56:28 @[ attention_aot.py:258:12 ]
	global_load_ushort v47, v[16:17], off
	.loc	1 51 34                         ; attention_aot.py:51:34 @[ attention_aot.py:258:12 ]
	s_or_b32 s62, s67, 0x60
	.loc	1 51 44 is_stmt 0               ; attention_aot.py:51:44 @[ attention_aot.py:258:12 ]
	s_cmp_ge_i32 s62, s66
	.loc	1 56 28 is_stmt 1               ; attention_aot.py:56:28 @[ attention_aot.py:258:12 ]
	s_cbranch_scc1 .LBB0_98
.LBB0_106:
	.loc	1 109 23                        ; attention_aot.py:109:23 @[ attention_aot.py:258:12 ]
	v_lshl_add_u64 v[16:17], s[18:19], 1, v[72:73]
	.loc	1 56 28                         ; attention_aot.py:56:28 @[ attention_aot.py:258:12 ]
	global_load_ushort v80, v[16:17], off
	.loc	1 51 34                         ; attention_aot.py:51:34 @[ attention_aot.py:258:12 ]
	s_or_b32 s62, s67, 0x68
	.loc	1 51 44 is_stmt 0               ; attention_aot.py:51:44 @[ attention_aot.py:258:12 ]
	s_cmp_ge_i32 s62, s66
	.loc	1 56 28 is_stmt 1               ; attention_aot.py:56:28 @[ attention_aot.py:258:12 ]
	s_cbranch_scc1 .LBB0_99
.LBB0_107:
	.loc	1 109 23                        ; attention_aot.py:109:23 @[ attention_aot.py:258:12 ]
	v_lshl_add_u64 v[16:17], s[18:19], 1, v[74:75]
	.loc	1 56 28                         ; attention_aot.py:56:28 @[ attention_aot.py:258:12 ]
	global_load_ushort v81, v[16:17], off
	.loc	1 51 34                         ; attention_aot.py:51:34 @[ attention_aot.py:258:12 ]
	s_or_b32 s62, s67, 0x70
	.loc	1 51 44 is_stmt 0               ; attention_aot.py:51:44 @[ attention_aot.py:258:12 ]
	s_cmp_ge_i32 s62, s66
	.loc	1 56 28 is_stmt 1               ; attention_aot.py:56:28 @[ attention_aot.py:258:12 ]
	s_cbranch_scc1 .LBB0_100
.LBB0_108:
	.loc	1 109 23                        ; attention_aot.py:109:23 @[ attention_aot.py:258:12 ]
	v_lshl_add_u64 v[16:17], s[18:19], 1, v[76:77]
	.loc	1 56 28                         ; attention_aot.py:56:28 @[ attention_aot.py:258:12 ]
	global_load_ushort v82, v[16:17], off
.LBB0_109:
	.loc	1 51 34                         ; attention_aot.py:51:34 @[ attention_aot.py:258:12 ]
	s_or_b32 s62, s67, 0x78
	.loc	1 51 44 is_stmt 0               ; attention_aot.py:51:44 @[ attention_aot.py:258:12 ]
	s_cmp_ge_i32 s62, s66
	.loc	1 56 28 is_stmt 1               ; attention_aot.py:56:28 @[ attention_aot.py:258:12 ]
	scratch_store_dwordx2 off, v[188:189], off offset:64 ; 8-byte Folded Spill
	scratch_store_dwordx2 off, v[190:191], off offset:72 ; 8-byte Folded Spill
	;; [unrolled: 1-line block ×4, first 2 shown]
	s_cbranch_scc1 .LBB0_111
; %bb.110:
	.loc	1 109 23                        ; attention_aot.py:109:23 @[ attention_aot.py:258:12 ]
	v_lshl_add_u64 v[16:17], s[18:19], 1, v[78:79]
	.loc	1 56 28                         ; attention_aot.py:56:28 @[ attention_aot.py:258:12 ]
	global_load_ushort v83, v[16:17], off
	s_branch .LBB0_112
.LBB0_111:
	.loc	1 0 28 is_stmt 0                ; attention_aot.py:0:28
	v_mov_b32_e32 v83, 0
.LBB0_112:
	v_mov_b32_e32 v18, 0x210
	v_and_b32_e32 v16, 0x48, v151
	v_cndmask_b32_e64 v18, v18, 0, s[2:3]
	v_lshl_or_b32 v19, v154, 5, v152
	v_and_b32_e32 v17, 32, v153
	v_bitop3_b32 v16, v16, v19, v18 bitop3:0x36
	s_movk_i32 s63, 0x420
	v_mov_b32_e32 v18, 0x420
	v_or_b32_e32 v162, v16, v17
	v_bitop3_b32 v163, v16, s63, v17 bitop3:0x36
	v_lshlrev_b32_e32 v17, 1, v113
	v_cndmask_b32_e64 v18, v18, 0, s[2:3]
	s_lshr_b32 s84, s65, 1
	v_bitop3_b32 v174, s75, v18, v17 bitop3:0x36
	v_lshl_or_b32 v17, v154, 6, v152
	v_and_or_b32 v19, v153, 56, s84
	v_bitop3_b32 v16, v16, 32, v153 bitop3:0x34
	v_bitop3_b32 v182, v18, v19, v17 bitop3:0x36
	.loc	1 56 28 is_stmt 1               ; attention_aot.py:56:28 @[ attention_aot.py:258:12 ]
	v_add_u32_e32 v169, 0, v16
	.loc	1 58 27                         ; attention_aot.py:58:27 @[ attention_aot.py:258:12 ]
	s_waitcnt lgkmcnt(11)
	v_mfma_f32_32x32x16_f16 v[16:31], v[12:15], v[214:217], 0
	.loc	1 51 44                         ; attention_aot.py:51:44 @[ attention_aot.py:258:12 ]
	v_cmp_gt_i32_e32 vcc, s66, v114
	s_mov_b32 s84, 0xff800000
	s_lshl_b32 s63, s75, 1
	v_lshl_add_u32 v157, v113, 2, 0
	.loc	1 56 28                         ; attention_aot.py:56:28 @[ attention_aot.py:258:12 ]
	v_add_u32_e32 v168, 0, v162
	ds_read_b64_tr_b16 v[96:97], v168 offset:24576
	ds_read_b64_tr_b16 v[92:93], v168 offset:26624
	;; [unrolled: 1-line block ×8, first 2 shown]
	.loc	1 58 27                         ; attention_aot.py:58:27 @[ attention_aot.py:258:12 ]
	s_waitcnt lgkmcnt(14)
	v_mfma_f32_32x32x16_f16 v[16:31], v[8:11], v[210:213], v[16:31]
	v_xor_b32_e32 v175, 8, v174
	v_xor_b32_e32 v176, 16, v174
	;; [unrolled: 1-line block ×7, first 2 shown]
	v_mfma_f32_32x32x16_f16 v[16:31], v[4:7], v[206:209], v[16:31]
	v_xor_b32_e32 v183, 64, v182
	v_xor_b32_e32 v161, 0x220, v159
	;; [unrolled: 1-line block ×3, first 2 shown]
	s_mov_b32 s62, 0
	.loc	1 50 33                         ; attention_aot.py:50:33 @[ attention_aot.py:258:12 ]
	s_cmp_eq_u32 s23, 64
	.loc	1 58 27                         ; attention_aot.py:58:27 @[ attention_aot.py:258:12 ]
	v_mfma_f32_32x32x16_f16 v[16:31], v[0:3], v[202:205], v[16:31]
	s_waitcnt lgkmcnt(11)
	v_mfma_f32_32x32x16_f16 v[0:15], v[170:173], v[214:217], 0
	.loc	1 60 49                         ; attention_aot.py:60:49 @[ attention_aot.py:258:12 ]
	v_mov_b32_e32 v170, 0xff800000
	s_nop 8
	v_cndmask_b32_e32 v16, v170, v16, vcc
	.loc	1 51 44                         ; attention_aot.py:51:44 @[ attention_aot.py:258:12 ]
	v_cmp_gt_i32_e32 vcc, s66, v142
	.loc	1 60 49                         ; attention_aot.py:60:49 @[ attention_aot.py:258:12 ]
	s_nop 1
	v_cndmask_b32_e32 v17, v170, v17, vcc
	.loc	1 51 44                         ; attention_aot.py:51:44 @[ attention_aot.py:258:12 ]
	v_cmp_gt_i32_e32 vcc, s66, v143
	.loc	1 58 27                         ; attention_aot.py:58:27 @[ attention_aot.py:258:12 ]
	s_waitcnt lgkmcnt(10)
	v_mfma_f32_32x32x16_f16 v[0:15], v[108:111], v[210:213], v[0:15]
	.loc	1 60 49                         ; attention_aot.py:60:49 @[ attention_aot.py:258:12 ]
	v_cndmask_b32_e32 v18, v170, v18, vcc
	.loc	1 51 44                         ; attention_aot.py:51:44 @[ attention_aot.py:258:12 ]
	v_cmp_gt_i32_e32 vcc, s66, v144
	.loc	1 60 49                         ; attention_aot.py:60:49 @[ attention_aot.py:258:12 ]
	s_nop 1
	v_cndmask_b32_e32 v19, v170, v19, vcc
	.loc	1 51 44                         ; attention_aot.py:51:44 @[ attention_aot.py:258:12 ]
	v_cmp_gt_i32_e32 vcc, s66, v145
	.loc	1 58 27                         ; attention_aot.py:58:27 @[ attention_aot.py:258:12 ]
	s_waitcnt lgkmcnt(9)
	v_mfma_f32_32x32x16_f16 v[0:15], v[104:107], v[206:209], v[0:15]
	.loc	1 60 49                         ; attention_aot.py:60:49 @[ attention_aot.py:258:12 ]
	v_cndmask_b32_e32 v20, v170, v20, vcc
	.loc	1 51 44                         ; attention_aot.py:51:44 @[ attention_aot.py:258:12 ]
	v_cmp_gt_i32_e32 vcc, s66, v135
	.loc	1 83 18                         ; attention_aot.py:83:18 @[ attention_aot.py:258:12 ]
	v_mul_f32_e32 v104, v156, v20
	.loc	1 60 49                         ; attention_aot.py:60:49 @[ attention_aot.py:258:12 ]
	s_nop 0
	v_cndmask_b32_e32 v21, v170, v21, vcc
	.loc	1 51 44                         ; attention_aot.py:51:44 @[ attention_aot.py:258:12 ]
	v_cmp_gt_i32_e32 vcc, s66, v136
	.loc	1 58 27                         ; attention_aot.py:58:27 @[ attention_aot.py:258:12 ]
	s_waitcnt lgkmcnt(8)
	v_mfma_f32_32x32x16_f16 v[0:15], v[100:103], v[202:205], v[0:15]
	.loc	1 83 18                         ; attention_aot.py:83:18 @[ attention_aot.py:258:12 ]
	v_mul_f32_e32 v100, v156, v16
	.loc	1 60 49                         ; attention_aot.py:60:49 @[ attention_aot.py:258:12 ]
	v_cndmask_b32_e32 v22, v170, v22, vcc
	.loc	1 51 44                         ; attention_aot.py:51:44 @[ attention_aot.py:258:12 ]
	v_cmp_gt_i32_e32 vcc, s66, v137
	.loc	1 83 18                         ; attention_aot.py:83:18 @[ attention_aot.py:258:12 ]
	v_mul_f32_e32 v101, v156, v17
	v_mul_f32_e32 v102, v156, v18
	.loc	1 60 49                         ; attention_aot.py:60:49 @[ attention_aot.py:258:12 ]
	v_cndmask_b32_e32 v23, v170, v23, vcc
	.loc	1 51 44                         ; attention_aot.py:51:44 @[ attention_aot.py:258:12 ]
	v_cmp_gt_i32_e32 vcc, s66, v138
	.loc	1 83 18                         ; attention_aot.py:83:18 @[ attention_aot.py:258:12 ]
	v_mul_f32_e32 v103, v156, v19
.Ltmp59:
	.file	2 "/root/.local/lib/python3.13/site-packages/triton/language" "standard.py"
	.loc	2 170 27                        ; standard.py:170:27 @[ standard.py:191:40 @[ attention_aot.py:86:46 @[ attention_aot.py:258:12 ] ] ]
	v_max_f32_e32 v100, v100, v101
.Ltmp60:
	.loc	1 60 49                         ; attention_aot.py:60:49 @[ attention_aot.py:258:12 ]
	v_cndmask_b32_e32 v24, v170, v24, vcc
	.loc	1 51 44                         ; attention_aot.py:51:44 @[ attention_aot.py:258:12 ]
	v_cmp_gt_i32_e32 vcc, s66, v139
	.loc	1 83 18                         ; attention_aot.py:83:18 @[ attention_aot.py:258:12 ]
	v_mul_f32_e32 v105, v156, v21
.Ltmp61:
	.loc	2 170 27                        ; standard.py:170:27 @[ standard.py:191:40 @[ attention_aot.py:86:46 @[ attention_aot.py:258:12 ] ] ]
	v_max3_f32 v100, v100, v102, v103
.Ltmp62:
	.loc	1 60 49                         ; attention_aot.py:60:49 @[ attention_aot.py:258:12 ]
	v_cndmask_b32_e32 v25, v170, v25, vcc
	.loc	1 51 44                         ; attention_aot.py:51:44 @[ attention_aot.py:258:12 ]
	v_cmp_gt_i32_e32 vcc, s66, v140
	.loc	1 83 18                         ; attention_aot.py:83:18 @[ attention_aot.py:258:12 ]
	v_mul_f32_e32 v106, v156, v22
	v_mul_f32_e32 v107, v156, v23
	.loc	1 60 49                         ; attention_aot.py:60:49 @[ attention_aot.py:258:12 ]
	v_cndmask_b32_e32 v26, v170, v26, vcc
	.loc	1 51 44                         ; attention_aot.py:51:44 @[ attention_aot.py:258:12 ]
	v_cmp_gt_i32_e32 vcc, s66, v141
.Ltmp63:
	.loc	2 170 27                        ; standard.py:170:27 @[ standard.py:191:40 @[ attention_aot.py:86:46 @[ attention_aot.py:258:12 ] ] ]
	v_max3_f32 v100, v100, v104, v105
.Ltmp64:
	.loc	1 83 18                         ; attention_aot.py:83:18 @[ attention_aot.py:258:12 ]
	v_mul_f32_e32 v108, v156, v24
	.loc	1 60 49                         ; attention_aot.py:60:49 @[ attention_aot.py:258:12 ]
	v_cndmask_b32_e32 v27, v170, v27, vcc
	.loc	1 51 44                         ; attention_aot.py:51:44 @[ attention_aot.py:258:12 ]
	v_cmp_gt_i32_e32 vcc, s66, v130
	.loc	1 83 18                         ; attention_aot.py:83:18 @[ attention_aot.py:258:12 ]
	v_mul_f32_e32 v109, v156, v25
.Ltmp65:
	.loc	2 170 27                        ; standard.py:170:27 @[ standard.py:191:40 @[ attention_aot.py:86:46 @[ attention_aot.py:258:12 ] ] ]
	v_max3_f32 v100, v100, v106, v107
.Ltmp66:
	.loc	1 60 49                         ; attention_aot.py:60:49 @[ attention_aot.py:258:12 ]
	v_cndmask_b32_e32 v28, v170, v28, vcc
	.loc	1 51 44                         ; attention_aot.py:51:44 @[ attention_aot.py:258:12 ]
	v_cmp_gt_i32_e32 vcc, s66, v131
	.loc	1 83 18                         ; attention_aot.py:83:18 @[ attention_aot.py:258:12 ]
	v_mul_f32_e32 v110, v156, v26
	v_mul_f32_e32 v111, v156, v27
	.loc	1 60 49                         ; attention_aot.py:60:49 @[ attention_aot.py:258:12 ]
	v_cndmask_b32_e32 v29, v170, v29, vcc
	.loc	1 51 44                         ; attention_aot.py:51:44 @[ attention_aot.py:258:12 ]
	v_cmp_gt_i32_e32 vcc, s66, v132
.Ltmp67:
	.loc	2 170 27                        ; standard.py:170:27 @[ standard.py:191:40 @[ attention_aot.py:86:46 @[ attention_aot.py:258:12 ] ] ]
	v_max3_f32 v100, v100, v108, v109
.Ltmp68:
	.loc	1 83 18                         ; attention_aot.py:83:18 @[ attention_aot.py:258:12 ]
	v_mul_f32_e32 v155, v156, v28
	.loc	1 60 49                         ; attention_aot.py:60:49 @[ attention_aot.py:258:12 ]
	v_cndmask_b32_e32 v30, v170, v30, vcc
	.loc	1 51 44                         ; attention_aot.py:51:44 @[ attention_aot.py:258:12 ]
	v_cmp_gt_i32_e32 vcc, s66, v133
	.loc	1 83 18                         ; attention_aot.py:83:18 @[ attention_aot.py:258:12 ]
	v_mul_f32_e32 v171, v156, v29
.Ltmp69:
	.loc	2 170 27                        ; standard.py:170:27 @[ standard.py:191:40 @[ attention_aot.py:86:46 @[ attention_aot.py:258:12 ] ] ]
	v_max3_f32 v100, v100, v110, v111
.Ltmp70:
	.loc	1 60 49                         ; attention_aot.py:60:49 @[ attention_aot.py:258:12 ]
	v_cndmask_b32_e32 v31, v170, v31, vcc
	.loc	1 51 44                         ; attention_aot.py:51:44 @[ attention_aot.py:258:12 ]
	v_cmp_gt_i32_e32 vcc, s66, v134
	.loc	1 83 18                         ; attention_aot.py:83:18 @[ attention_aot.py:258:12 ]
	v_mul_f32_e32 v172, v156, v30
	v_mul_f32_e32 v173, v156, v31
	.loc	1 60 49                         ; attention_aot.py:60:49 @[ attention_aot.py:258:12 ]
	v_cndmask_b32_e32 v0, v170, v0, vcc
	.loc	1 51 44                         ; attention_aot.py:51:44 @[ attention_aot.py:258:12 ]
	v_cmp_gt_i32_e32 vcc, s66, v129
.Ltmp71:
	.loc	2 170 27                        ; standard.py:170:27 @[ standard.py:191:40 @[ attention_aot.py:86:46 @[ attention_aot.py:258:12 ] ] ]
	v_max3_f32 v100, v100, v155, v171
.Ltmp72:
	.loc	1 83 18                         ; attention_aot.py:83:18 @[ attention_aot.py:258:12 ]
	v_mul_f32_e32 v184, v156, v0
	.loc	1 60 49                         ; attention_aot.py:60:49 @[ attention_aot.py:258:12 ]
	v_cndmask_b32_e32 v1, v170, v1, vcc
	.loc	1 51 44                         ; attention_aot.py:51:44 @[ attention_aot.py:258:12 ]
	v_cmp_gt_i32_e32 vcc, s66, v122
	.loc	1 83 18                         ; attention_aot.py:83:18 @[ attention_aot.py:258:12 ]
	v_mul_f32_e32 v185, v156, v1
.Ltmp73:
	.loc	2 170 27                        ; standard.py:170:27 @[ standard.py:191:40 @[ attention_aot.py:86:46 @[ attention_aot.py:258:12 ] ] ]
	v_max3_f32 v100, v100, v172, v173
.Ltmp74:
	.loc	1 60 49                         ; attention_aot.py:60:49 @[ attention_aot.py:258:12 ]
	v_cndmask_b32_e32 v2, v170, v2, vcc
	.loc	1 51 44                         ; attention_aot.py:51:44 @[ attention_aot.py:258:12 ]
	v_cmp_gt_i32_e32 vcc, s66, v123
	.loc	1 83 18                         ; attention_aot.py:83:18 @[ attention_aot.py:258:12 ]
	v_mul_f32_e32 v186, v156, v2
.Ltmp75:
	.loc	2 170 27                        ; standard.py:170:27 @[ standard.py:191:40 @[ attention_aot.py:86:46 @[ attention_aot.py:258:12 ] ] ]
	v_max3_f32 v100, v100, v184, v185
.Ltmp76:
	.loc	1 60 49                         ; attention_aot.py:60:49 @[ attention_aot.py:258:12 ]
	v_cndmask_b32_e32 v3, v170, v3, vcc
	.loc	1 51 44                         ; attention_aot.py:51:44 @[ attention_aot.py:258:12 ]
	v_cmp_gt_i32_e32 vcc, s66, v124
	.loc	1 83 18                         ; attention_aot.py:83:18 @[ attention_aot.py:258:12 ]
	v_mul_f32_e32 v187, v156, v3
.Ltmp77:
	.loc	2 170 27                        ; standard.py:170:27 @[ standard.py:191:40 @[ attention_aot.py:86:46 @[ attention_aot.py:258:12 ] ] ]
	v_max3_f32 v100, v100, v186, v187
.Ltmp78:
	.loc	1 60 49                         ; attention_aot.py:60:49 @[ attention_aot.py:258:12 ]
	v_cndmask_b32_e32 v4, v170, v4, vcc
	.loc	1 51 44                         ; attention_aot.py:51:44 @[ attention_aot.py:258:12 ]
	v_cmp_gt_i32_e32 vcc, s66, v125
	.loc	1 83 18                         ; attention_aot.py:83:18 @[ attention_aot.py:258:12 ]
	v_mul_f32_e32 v188, v156, v4
	.loc	1 95 20                         ; attention_aot.py:95:20 @[ attention_aot.py:258:12 ]
	v_add_u32_e32 v171, s63, v157
	.loc	1 60 49                         ; attention_aot.py:60:49 @[ attention_aot.py:258:12 ]
	v_cndmask_b32_e32 v5, v170, v5, vcc
	.loc	1 51 44                         ; attention_aot.py:51:44 @[ attention_aot.py:258:12 ]
	v_cmp_gt_i32_e32 vcc, s66, v126
	.loc	1 83 18                         ; attention_aot.py:83:18 @[ attention_aot.py:258:12 ]
	v_mul_f32_e32 v189, v156, v5
.Ltmp79:
	.loc	2 170 27                        ; standard.py:170:27 @[ standard.py:191:40 @[ attention_aot.py:86:46 @[ attention_aot.py:258:12 ] ] ]
	v_max3_f32 v100, v100, v188, v189
.Ltmp80:
	.loc	1 60 49                         ; attention_aot.py:60:49 @[ attention_aot.py:258:12 ]
	v_cndmask_b32_e32 v6, v170, v6, vcc
	.loc	1 51 44                         ; attention_aot.py:51:44 @[ attention_aot.py:258:12 ]
	v_cmp_gt_i32_e32 vcc, s66, v127
	.loc	1 83 18                         ; attention_aot.py:83:18 @[ attention_aot.py:258:12 ]
	v_mul_f32_e32 v190, v156, v6
	.loc	1 95 20                         ; attention_aot.py:95:20 @[ attention_aot.py:258:12 ]
	v_add_u32_e32 v172, s65, v157
	.loc	1 60 49                         ; attention_aot.py:60:49 @[ attention_aot.py:258:12 ]
	v_cndmask_b32_e32 v7, v170, v7, vcc
	.loc	1 51 44                         ; attention_aot.py:51:44 @[ attention_aot.py:258:12 ]
	v_cmp_gt_i32_e32 vcc, s66, v128
	.loc	1 83 18                         ; attention_aot.py:83:18 @[ attention_aot.py:258:12 ]
	v_mul_f32_e32 v191, v156, v7
.Ltmp81:
	.loc	2 170 27                        ; standard.py:170:27 @[ standard.py:191:40 @[ attention_aot.py:86:46 @[ attention_aot.py:258:12 ] ] ]
	v_max3_f32 v100, v100, v190, v191
.Ltmp82:
	.loc	1 60 49                         ; attention_aot.py:60:49 @[ attention_aot.py:258:12 ]
	v_cndmask_b32_e32 v8, v170, v8, vcc
	.loc	1 51 44                         ; attention_aot.py:51:44 @[ attention_aot.py:258:12 ]
	v_cmp_gt_i32_e32 vcc, s66, v115
	.loc	1 83 18                         ; attention_aot.py:83:18 @[ attention_aot.py:258:12 ]
	v_mul_f32_e32 v192, v156, v8
	.loc	1 102 21                        ; attention_aot.py:102:21 @[ attention_aot.py:258:12 ]
	v_add_u32_e32 v173, 0, v174
	.loc	1 60 49                         ; attention_aot.py:60:49 @[ attention_aot.py:258:12 ]
	v_cndmask_b32_e32 v9, v170, v9, vcc
	.loc	1 51 44                         ; attention_aot.py:51:44 @[ attention_aot.py:258:12 ]
	v_cmp_gt_i32_e32 vcc, s66, v116
	.loc	1 83 18                         ; attention_aot.py:83:18 @[ attention_aot.py:258:12 ]
	v_mul_f32_e32 v193, v156, v9
.Ltmp83:
	.loc	2 170 27                        ; standard.py:170:27 @[ standard.py:191:40 @[ attention_aot.py:86:46 @[ attention_aot.py:258:12 ] ] ]
	v_max3_f32 v100, v100, v192, v193
.Ltmp84:
	.loc	1 60 49                         ; attention_aot.py:60:49 @[ attention_aot.py:258:12 ]
	v_cndmask_b32_e32 v10, v170, v10, vcc
	.loc	1 51 44                         ; attention_aot.py:51:44 @[ attention_aot.py:258:12 ]
	v_cmp_gt_i32_e32 vcc, s66, v117
	.loc	1 83 18                         ; attention_aot.py:83:18 @[ attention_aot.py:258:12 ]
	v_mul_f32_e32 v194, v156, v10
	.loc	1 102 21                        ; attention_aot.py:102:21 @[ attention_aot.py:258:12 ]
	v_add_u32_e32 v174, 0, v175
	.loc	1 60 49                         ; attention_aot.py:60:49 @[ attention_aot.py:258:12 ]
	v_cndmask_b32_e32 v11, v170, v11, vcc
	.loc	1 51 44                         ; attention_aot.py:51:44 @[ attention_aot.py:258:12 ]
	v_cmp_gt_i32_e32 vcc, s66, v118
	.loc	1 83 18                         ; attention_aot.py:83:18 @[ attention_aot.py:258:12 ]
	v_mul_f32_e32 v195, v156, v11
.Ltmp85:
	.loc	2 170 27                        ; standard.py:170:27 @[ standard.py:191:40 @[ attention_aot.py:86:46 @[ attention_aot.py:258:12 ] ] ]
	v_max3_f32 v100, v100, v194, v195
.Ltmp86:
	.loc	1 60 49                         ; attention_aot.py:60:49 @[ attention_aot.py:258:12 ]
	v_cndmask_b32_e32 v12, v170, v12, vcc
	.loc	1 51 44                         ; attention_aot.py:51:44 @[ attention_aot.py:258:12 ]
	v_cmp_gt_i32_e32 vcc, s66, v119
	.loc	1 83 18                         ; attention_aot.py:83:18 @[ attention_aot.py:258:12 ]
	v_mul_f32_e32 v196, v156, v12
	.loc	1 102 21                        ; attention_aot.py:102:21 @[ attention_aot.py:258:12 ]
	v_add_u32_e32 v175, 0, v176
	.loc	1 60 49                         ; attention_aot.py:60:49 @[ attention_aot.py:258:12 ]
	v_cndmask_b32_e32 v13, v170, v13, vcc
	.loc	1 51 44                         ; attention_aot.py:51:44 @[ attention_aot.py:258:12 ]
	v_cmp_gt_i32_e32 vcc, s66, v120
	.loc	1 83 18                         ; attention_aot.py:83:18 @[ attention_aot.py:258:12 ]
	v_mul_f32_e32 v197, v156, v13
.Ltmp87:
	.loc	2 170 27                        ; standard.py:170:27 @[ standard.py:191:40 @[ attention_aot.py:86:46 @[ attention_aot.py:258:12 ] ] ]
	v_max3_f32 v100, v100, v196, v197
.Ltmp88:
	.loc	1 60 49                         ; attention_aot.py:60:49 @[ attention_aot.py:258:12 ]
	v_cndmask_b32_e32 v14, v170, v14, vcc
	.loc	1 51 44                         ; attention_aot.py:51:44 @[ attention_aot.py:258:12 ]
	v_cmp_gt_i32_e32 vcc, s66, v121
	.loc	1 83 18                         ; attention_aot.py:83:18 @[ attention_aot.py:258:12 ]
	v_mul_f32_e32 v198, v156, v14
	.loc	1 102 21                        ; attention_aot.py:102:21 @[ attention_aot.py:258:12 ]
	v_add_u32_e32 v176, 0, v177
	.loc	1 60 49                         ; attention_aot.py:60:49 @[ attention_aot.py:258:12 ]
	v_cndmask_b32_e32 v15, v170, v15, vcc
	.loc	1 83 18                         ; attention_aot.py:83:18 @[ attention_aot.py:258:12 ]
	v_mul_f32_e32 v199, v156, v15
.Ltmp89:
	.loc	2 170 27                        ; standard.py:170:27 @[ standard.py:191:40 @[ attention_aot.py:86:46 @[ attention_aot.py:258:12 ] ] ]
	v_max3_f32 v100, v100, v198, v199
.Ltmp90:
	.loc	2 191 40                        ; standard.py:191:40 @[ attention_aot.py:86:46 @[ attention_aot.py:258:12 ] ]
	v_mov_b32_e32 v101, v100
	s_nop 1
	v_permlane32_swap_b32_e32 v100, v101
.Ltmp91:
	.loc	1 86 35                         ; attention_aot.py:86:35 @[ attention_aot.py:258:12 ]
	v_max3_f32 v155, v100, v101, s84
	.loc	1 87 22                         ; attention_aot.py:87:22 @[ attention_aot.py:258:12 ]
	v_fma_f32 v16, v156, v16, -v155
	v_fma_f32 v17, v156, v17, -v155
	;; [unrolled: 1-line block ×3, first 2 shown]
	.loc	1 89 25                         ; attention_aot.py:89:25 @[ attention_aot.py:258:12 ]
	v_exp_f32_e32 v16, v16
	v_exp_f32_e32 v17, v17
	.loc	1 87 22                         ; attention_aot.py:87:22 @[ attention_aot.py:258:12 ]
	v_fma_f32 v19, v156, v19, -v155
	.loc	1 89 25                         ; attention_aot.py:89:25 @[ attention_aot.py:258:12 ]
	v_exp_f32_e32 v18, v18
	.loc	1 87 22                         ; attention_aot.py:87:22 @[ attention_aot.py:258:12 ]
	v_fma_f32 v20, v156, v20, -v155
	.loc	1 89 25                         ; attention_aot.py:89:25 @[ attention_aot.py:258:12 ]
	v_exp_f32_e32 v19, v19
	.loc	1 87 22                         ; attention_aot.py:87:22 @[ attention_aot.py:258:12 ]
	v_fma_f32 v21, v156, v21, -v155
	v_fma_f32 v0, v156, v0, -v155
	.loc	1 89 25                         ; attention_aot.py:89:25 @[ attention_aot.py:258:12 ]
	v_exp_f32_e32 v20, v20
	.loc	1 87 22                         ; attention_aot.py:87:22 @[ attention_aot.py:258:12 ]
	v_fma_f32 v22, v156, v22, -v155
	.loc	1 89 25                         ; attention_aot.py:89:25 @[ attention_aot.py:258:12 ]
	v_exp_f32_e32 v21, v21
	v_exp_f32_e32 v100, v0
.Ltmp92:
	.loc	2 263 15                        ; standard.py:263:15 @[ standard.py:293:36 @[ attention_aot.py:90:25 @[ attention_aot.py:258:12 ] ] ]
	v_add_f32_e32 v0, v16, v17
.Ltmp93:
	.loc	1 87 22                         ; attention_aot.py:87:22 @[ attention_aot.py:258:12 ]
	v_fma_f32 v23, v156, v23, -v155
	.loc	1 89 25                         ; attention_aot.py:89:25 @[ attention_aot.py:258:12 ]
	v_exp_f32_e32 v22, v22
.Ltmp94:
	.loc	2 263 15                        ; standard.py:263:15 @[ standard.py:293:36 @[ attention_aot.py:90:25 @[ attention_aot.py:258:12 ] ] ]
	v_add_f32_e32 v0, v18, v0
.Ltmp95:
	.loc	1 87 22                         ; attention_aot.py:87:22 @[ attention_aot.py:258:12 ]
	v_fma_f32 v24, v156, v24, -v155
	.loc	1 89 25                         ; attention_aot.py:89:25 @[ attention_aot.py:258:12 ]
	v_exp_f32_e32 v23, v23
.Ltmp96:
	.loc	2 263 15                        ; standard.py:263:15 @[ standard.py:293:36 @[ attention_aot.py:90:25 @[ attention_aot.py:258:12 ] ] ]
	v_add_f32_e32 v0, v19, v0
.Ltmp97:
	.loc	1 87 22                         ; attention_aot.py:87:22 @[ attention_aot.py:258:12 ]
	v_fma_f32 v25, v156, v25, -v155
	v_fma_f32 v1, v156, v1, -v155
	.loc	1 89 25                         ; attention_aot.py:89:25 @[ attention_aot.py:258:12 ]
	v_exp_f32_e32 v24, v24
.Ltmp98:
	.loc	2 263 15                        ; standard.py:263:15 @[ standard.py:293:36 @[ attention_aot.py:90:25 @[ attention_aot.py:258:12 ] ] ]
	v_add_f32_e32 v0, v20, v0
.Ltmp99:
	.loc	1 87 22                         ; attention_aot.py:87:22 @[ attention_aot.py:258:12 ]
	v_fma_f32 v26, v156, v26, -v155
	.loc	1 89 25                         ; attention_aot.py:89:25 @[ attention_aot.py:258:12 ]
	v_exp_f32_e32 v25, v25
	v_exp_f32_e32 v101, v1
.Ltmp100:
	.loc	2 263 15                        ; standard.py:263:15 @[ standard.py:293:36 @[ attention_aot.py:90:25 @[ attention_aot.py:258:12 ] ] ]
	v_add_f32_e32 v0, v21, v0
.Ltmp101:
	.loc	1 92 35                         ; attention_aot.py:92:35 @[ attention_aot.py:258:12 ]
	v_sub_f32_e32 v1, 0xff800000, v155
	.loc	1 87 22                         ; attention_aot.py:87:22 @[ attention_aot.py:258:12 ]
	v_fma_f32 v27, v156, v27, -v155
	.loc	1 89 25                         ; attention_aot.py:89:25 @[ attention_aot.py:258:12 ]
	v_exp_f32_e32 v26, v26
.Ltmp102:
	.loc	2 263 15                        ; standard.py:263:15 @[ standard.py:293:36 @[ attention_aot.py:90:25 @[ attention_aot.py:258:12 ] ] ]
	v_add_f32_e32 v0, v22, v0
.Ltmp103:
	.loc	1 92 29                         ; attention_aot.py:92:29 @[ attention_aot.py:258:12 ]
	v_exp_f32_e32 v188, v1
	.loc	1 87 22                         ; attention_aot.py:87:22 @[ attention_aot.py:258:12 ]
	v_fma_f32 v28, v156, v28, -v155
	.loc	1 89 25                         ; attention_aot.py:89:25 @[ attention_aot.py:258:12 ]
	v_exp_f32_e32 v27, v27
.Ltmp104:
	.loc	2 263 15                        ; standard.py:263:15 @[ standard.py:293:36 @[ attention_aot.py:90:25 @[ attention_aot.py:258:12 ] ] ]
	v_add_f32_e32 v0, v23, v0
.Ltmp105:
	.loc	1 87 22                         ; attention_aot.py:87:22 @[ attention_aot.py:258:12 ]
	v_fma_f32 v29, v156, v29, -v155
	.loc	1 89 25                         ; attention_aot.py:89:25 @[ attention_aot.py:258:12 ]
	v_exp_f32_e32 v28, v28
.Ltmp106:
	.loc	2 263 15                        ; standard.py:263:15 @[ standard.py:293:36 @[ attention_aot.py:90:25 @[ attention_aot.py:258:12 ] ] ]
	v_add_f32_e32 v0, v24, v0
.Ltmp107:
	.loc	1 87 22                         ; attention_aot.py:87:22 @[ attention_aot.py:258:12 ]
	v_fma_f32 v30, v156, v30, -v155
	.loc	1 89 25                         ; attention_aot.py:89:25 @[ attention_aot.py:258:12 ]
	v_exp_f32_e32 v29, v29
.Ltmp108:
	.loc	2 263 15                        ; standard.py:263:15 @[ standard.py:293:36 @[ attention_aot.py:90:25 @[ attention_aot.py:258:12 ] ] ]
	v_add_f32_e32 v0, v25, v0
.Ltmp109:
	.loc	1 87 22                         ; attention_aot.py:87:22 @[ attention_aot.py:258:12 ]
	v_fma_f32 v31, v156, v31, -v155
	.loc	1 89 25                         ; attention_aot.py:89:25 @[ attention_aot.py:258:12 ]
	v_exp_f32_e32 v30, v30
.Ltmp110:
	.loc	2 263 15                        ; standard.py:263:15 @[ standard.py:293:36 @[ attention_aot.py:90:25 @[ attention_aot.py:258:12 ] ] ]
	v_add_f32_e32 v0, v26, v0
.Ltmp111:
	.loc	1 95 20                         ; attention_aot.py:95:20 @[ attention_aot.py:258:12 ]
	ds_write_b32 v171, v188
	s_waitcnt lgkmcnt(0)
	s_barrier
	ds_read_b32 v1, v172
	.loc	1 89 25                         ; attention_aot.py:89:25 @[ attention_aot.py:258:12 ]
	v_exp_f32_e32 v31, v31
.Ltmp112:
	.loc	2 263 15                        ; standard.py:263:15 @[ standard.py:293:36 @[ attention_aot.py:90:25 @[ attention_aot.py:258:12 ] ] ]
	v_add_f32_e32 v0, v27, v0
	v_add_f32_e32 v0, v28, v0
.Ltmp113:
	.loc	1 87 22                         ; attention_aot.py:87:22 @[ attention_aot.py:258:12 ]
	v_fma_f32 v8, v156, v8, -v155
.Ltmp114:
	.loc	2 263 15                        ; standard.py:263:15 @[ standard.py:293:36 @[ attention_aot.py:90:25 @[ attention_aot.py:258:12 ] ] ]
	v_add_f32_e32 v0, v29, v0
.Ltmp115:
	.loc	1 89 25                         ; attention_aot.py:89:25 @[ attention_aot.py:258:12 ]
	v_exp_f32_e32 v108, v8
.Ltmp116:
	.loc	2 263 15                        ; standard.py:263:15 @[ standard.py:293:36 @[ attention_aot.py:90:25 @[ attention_aot.py:258:12 ] ] ]
	v_add_f32_e32 v0, v30, v0
.Ltmp117:
	.loc	1 87 22                         ; attention_aot.py:87:22 @[ attention_aot.py:258:12 ]
	v_fma_f32 v2, v156, v2, -v155
.Ltmp118:
	.loc	2 263 15                        ; standard.py:263:15 @[ standard.py:293:36 @[ attention_aot.py:90:25 @[ attention_aot.py:258:12 ] ] ]
	v_add_f32_e32 v157, v31, v0
.Ltmp119:
	.loc	1 95 20                         ; attention_aot.py:95:20 @[ attention_aot.py:258:12 ]
	s_waitcnt lgkmcnt(0)
	v_mul_f32_e32 v0, 0, v1
	.loc	1 102 21                        ; attention_aot.py:102:21 @[ attention_aot.py:258:12 ]
	v_cvt_f16_f32_e32 v1, v16
	.loc	1 87 22                         ; attention_aot.py:87:22 @[ attention_aot.py:258:12 ]
	v_fma_f32 v3, v156, v3, -v155
	.loc	1 89 25                         ; attention_aot.py:89:25 @[ attention_aot.py:258:12 ]
	v_exp_f32_e32 v102, v2
	.loc	1 102 21                        ; attention_aot.py:102:21 @[ attention_aot.py:258:12 ]
	v_cvt_f16_f32_e32 v2, v24
	.loc	1 87 22                         ; attention_aot.py:87:22 @[ attention_aot.py:258:12 ]
	v_fma_f32 v4, v156, v4, -v155
	v_fma_f32 v9, v156, v9, -v155
	.loc	1 89 25                         ; attention_aot.py:89:25 @[ attention_aot.py:258:12 ]
	v_exp_f32_e32 v103, v3
	.loc	1 102 21                        ; attention_aot.py:102:21 @[ attention_aot.py:258:12 ]
	v_cvt_f16_f32_e32 v3, v100
	.loc	1 89 25                         ; attention_aot.py:89:25 @[ attention_aot.py:258:12 ]
	v_exp_f32_e32 v104, v4
	v_exp_f32_e32 v109, v9
	.loc	1 102 21                        ; attention_aot.py:102:21 @[ attention_aot.py:258:12 ]
	v_cvt_f16_f32_e32 v4, v108
	s_waitcnt lgkmcnt(0)
	s_barrier
	ds_write_b16 v173, v1
	ds_write_b16 v173, v2 offset:4096
	ds_write_b16 v173, v3 offset:8192
	ds_write_b16 v173, v4 offset:12288
	v_cvt_f16_f32_e32 v1, v17
	v_cvt_f16_f32_e32 v2, v25
	.loc	1 87 22                         ; attention_aot.py:87:22 @[ attention_aot.py:258:12 ]
	v_fma_f32 v10, v156, v10, -v155
	.loc	1 102 21                        ; attention_aot.py:102:21 @[ attention_aot.py:258:12 ]
	v_cvt_f16_f32_e32 v3, v101
	.loc	1 89 25                         ; attention_aot.py:89:25 @[ attention_aot.py:258:12 ]
	v_exp_f32_e32 v110, v10
	.loc	1 102 21                        ; attention_aot.py:102:21 @[ attention_aot.py:258:12 ]
	v_cvt_f16_f32_e32 v4, v109
	ds_write_b16 v174, v1 offset:256
	ds_write_b16 v174, v2 offset:4352
	ds_write_b16 v174, v3 offset:8448
	ds_write_b16 v174, v4 offset:12544
	v_cvt_f16_f32_e32 v1, v18
	v_cvt_f16_f32_e32 v2, v26
	.loc	1 87 22                         ; attention_aot.py:87:22 @[ attention_aot.py:258:12 ]
	v_fma_f32 v11, v156, v11, -v155
	.loc	1 102 21                        ; attention_aot.py:102:21 @[ attention_aot.py:258:12 ]
	v_cvt_f16_f32_e32 v3, v102
	.loc	1 89 25                         ; attention_aot.py:89:25 @[ attention_aot.py:258:12 ]
	v_exp_f32_e32 v111, v11
	.loc	1 102 21                        ; attention_aot.py:102:21 @[ attention_aot.py:258:12 ]
	v_cvt_f16_f32_e32 v4, v110
	ds_write_b16 v175, v1 offset:512
	;; [unrolled: 14-line block ×3, first 2 shown]
	ds_write_b16 v176, v2 offset:4864
	ds_write_b16 v176, v3 offset:8960
	ds_write_b16 v176, v4 offset:13056
	v_cvt_f16_f32_e32 v1, v20
	.loc	1 87 22                         ; attention_aot.py:87:22 @[ attention_aot.py:258:12 ]
	v_fma_f32 v5, v156, v5, -v155
	.loc	1 102 21                        ; attention_aot.py:102:21 @[ attention_aot.py:258:12 ]
	v_cvt_f16_f32_e32 v2, v28
	.loc	1 87 22                         ; attention_aot.py:87:22 @[ attention_aot.py:258:12 ]
	v_fma_f32 v13, v156, v13, -v155
	.loc	1 89 25                         ; attention_aot.py:89:25 @[ attention_aot.py:258:12 ]
	v_exp_f32_e32 v105, v5
	.loc	1 102 21                        ; attention_aot.py:102:21 @[ attention_aot.py:258:12 ]
	v_cvt_f16_f32_e32 v3, v104
	.loc	1 89 25                         ; attention_aot.py:89:25 @[ attention_aot.py:258:12 ]
	v_exp_f32_e32 v185, v13
	.loc	1 102 21                        ; attention_aot.py:102:21 @[ attention_aot.py:258:12 ]
	v_add_u32_e32 v177, 0, v178
	v_cvt_f16_f32_e32 v4, v184
	ds_write_b16 v177, v1 offset:2048
	ds_write_b16 v177, v2 offset:6144
	ds_write_b16 v177, v3 offset:10240
	ds_write_b16 v177, v4 offset:14336
	v_cvt_f16_f32_e32 v1, v21
	.loc	1 87 22                         ; attention_aot.py:87:22 @[ attention_aot.py:258:12 ]
	v_fma_f32 v6, v156, v6, -v155
	.loc	1 102 21                        ; attention_aot.py:102:21 @[ attention_aot.py:258:12 ]
	v_cvt_f16_f32_e32 v2, v29
	.loc	1 87 22                         ; attention_aot.py:87:22 @[ attention_aot.py:258:12 ]
	v_fma_f32 v14, v156, v14, -v155
	.loc	1 89 25                         ; attention_aot.py:89:25 @[ attention_aot.py:258:12 ]
	v_exp_f32_e32 v106, v6
	.loc	1 102 21                        ; attention_aot.py:102:21 @[ attention_aot.py:258:12 ]
	v_cvt_f16_f32_e32 v3, v105
	.loc	1 89 25                         ; attention_aot.py:89:25 @[ attention_aot.py:258:12 ]
	v_exp_f32_e32 v186, v14
	.loc	1 102 21                        ; attention_aot.py:102:21 @[ attention_aot.py:258:12 ]
	v_add_u32_e32 v178, 0, v179
	v_cvt_f16_f32_e32 v4, v185
	ds_write_b16 v178, v1 offset:2304
	;; [unrolled: 20-line block ×3, first 2 shown]
	ds_write_b16 v179, v2 offset:6656
	ds_write_b16 v179, v3 offset:10752
	;; [unrolled: 1-line block ×3, first 2 shown]
	v_cvt_f16_f32_e32 v1, v23
	v_cvt_f16_f32_e32 v2, v31
	;; [unrolled: 1-line block ×3, first 2 shown]
	v_add_u32_e32 v180, 0, v181
	v_cvt_f16_f32_e32 v4, v187
	v_add_u32_e32 v181, 0, v182
	v_add_u32_e32 v182, 0, v183
	ds_write_b16 v180, v1 offset:2816
	ds_write_b16 v180, v2 offset:6912
	;; [unrolled: 1-line block ×4, first 2 shown]
	s_waitcnt lgkmcnt(0)
	s_barrier
	ds_read_b64_tr_b16 v[16:17], v181
	ds_read_b64_tr_b16 v[20:21], v181 offset:4096
	ds_read_b64_tr_b16 v[24:25], v181 offset:8192
	;; [unrolled: 1-line block ×7, first 2 shown]
	.loc	1 104 31                        ; attention_aot.py:104:31 @[ attention_aot.py:258:12 ]
	v_mov_b32_e32 v1, v0
	v_mov_b32_e32 v2, v0
	;; [unrolled: 1-line block ×15, first 2 shown]
	.loc	1 54 22                         ; attention_aot.py:54:22 @[ attention_aot.py:258:12 ]
	s_waitcnt vmcnt(4)
	ds_write_b16 v146, v37 offset:16384
	ds_write_b16 v146, v39 offset:18432
	;; [unrolled: 1-line block ×8, first 2 shown]
	.loc	1 56 28                         ; attention_aot.py:56:28 @[ attention_aot.py:258:12 ]
	ds_write_b16 v148, v44 offset:24576
	ds_write_b16 v148, v46 offset:26624
	;; [unrolled: 1-line block ×7, first 2 shown]
	.loc	1 104 31                        ; attention_aot.py:104:31 @[ attention_aot.py:258:12 ]
	s_waitcnt lgkmcnt(14)
	v_mfma_f32_32x32x16_f16 v[0:15], v[96:99], v[16:19], v[0:15]
.Ltmp120:
	.loc	2 263 15                        ; standard.py:263:15 @[ standard.py:293:36 @[ attention_aot.py:90:25 @[ attention_aot.py:258:12 ] ] ]
	v_add_f32_e32 v16, v100, v157
	v_add_f32_e32 v16, v101, v16
	;; [unrolled: 1-line block ×7, first 2 shown]
.Ltmp121:
	.loc	1 104 31                        ; attention_aot.py:104:31 @[ attention_aot.py:258:12 ]
	v_mfma_f32_32x32x16_f16 v[0:15], v[92:95], v[20:23], v[0:15]
.Ltmp122:
	.loc	2 263 15                        ; standard.py:263:15 @[ standard.py:293:36 @[ attention_aot.py:90:25 @[ attention_aot.py:258:12 ] ] ]
	v_add_f32_e32 v16, v107, v16
	v_add_f32_e32 v16, v108, v16
	;; [unrolled: 1-line block ×7, first 2 shown]
.Ltmp123:
	.loc	1 104 31                        ; attention_aot.py:104:31 @[ attention_aot.py:258:12 ]
	v_mfma_f32_32x32x16_f16 v[0:15], v[88:91], v[24:27], v[0:15]
.Ltmp124:
	.loc	2 263 15                        ; standard.py:263:15 @[ standard.py:293:36 @[ attention_aot.py:90:25 @[ attention_aot.py:258:12 ] ] ]
	v_add_f32_e32 v16, v186, v16
	v_add_f32_e32 v16, v187, v16
.Ltmp125:
	.loc	2 293 36                        ; standard.py:293:36 @[ attention_aot.py:90:25 @[ attention_aot.py:258:12 ] ]
	v_mov_b32_e32 v17, v16
	s_nop 1
	v_permlane32_swap_b32_e32 v16, v17
.Ltmp126:
	.loc	2 263 15                        ; standard.py:263:15 @[ standard.py:293:36 @[ attention_aot.py:90:25 @[ attention_aot.py:258:12 ] ] ]
	v_add_f32_e32 v16, v16, v17
.Ltmp127:
	.loc	1 93 28                         ; attention_aot.py:93:28 @[ attention_aot.py:258:12 ]
	v_add_f32_e32 v157, v16, v188
	.loc	1 104 31                        ; attention_aot.py:104:31 @[ attention_aot.py:258:12 ]
	v_mfma_f32_32x32x16_f16 v[0:15], v[84:87], v[28:31], v[0:15]
	.loc	1 56 28                         ; attention_aot.py:56:28 @[ attention_aot.py:258:12 ]
	s_waitcnt vmcnt(0)
	ds_write_b16 v149, v83 offset:31744
	.loc	1 50 33                         ; attention_aot.py:50:33 @[ attention_aot.py:258:12 ]
	s_cbranch_scc1 .LBB0_148
; %bb.113:                              ; %.peel.next
	s_lshl_b64 s[84:85], s[18:19], 2
	s_add_u32 s60, s84, s60
	s_addc_u32 s61, s85, s61
	s_add_u32 s60, s6, s60
	v_lshlrev_b64 v[16:17], 1, v[34:35]
	s_addc_u32 s61, s7, s61
	v_lshl_add_u64 v[80:81], s[60:61], 0, v[16:17]
	s_lshl_b64 s[60:61], s[18:19], 1
	s_add_u32 s19, s84, s58
	s_addc_u32 s59, s85, s59
	s_add_u32 s58, s6, s19
	s_addc_u32 s59, s7, s59
	;; [unrolled: 2-line block ×14, first 2 shown]
	v_lshl_add_u64 v[94:95], s[6:7], 0, v[16:17]
	s_lshl_b64 s[46:47], s[20:21], 2
	s_lshl_b64 s[6:7], s[44:45], 1
	s_add_u32 s6, s46, s6
	s_addc_u32 s7, s47, s7
	s_add_u32 s6, s4, s6
	v_lshl_add_u64 v[82:83], s[58:59], 0, v[16:17]
	v_lshl_add_u64 v[84:85], s[56:57], 0, v[16:17]
	;; [unrolled: 1-line block ×6, first 2 shown]
	v_lshlrev_b64 v[16:17], 1, v[32:33]
	s_addc_u32 s7, s5, s7
	v_lshl_add_u64 v[96:97], s[6:7], 0, v[16:17]
	s_lshl_b64 s[6:7], s[20:21], 1
	s_lshl_b64 s[42:43], s[42:43], 1
	s_add_u32 s19, s46, s42
	s_addc_u32 s21, s47, s43
	s_add_u32 s42, s4, s19
	s_addc_u32 s43, s5, s21
	s_lshl_b64 s[40:41], s[40:41], 1
	s_add_u32 s19, s46, s40
	s_addc_u32 s21, s47, s41
	s_add_u32 s40, s4, s19
	s_addc_u32 s41, s5, s21
	;; [unrolled: 5-line block ×7, first 2 shown]
	v_lshl_add_u64 v[98:99], s[42:43], 0, v[16:17]
	v_lshl_add_u64 v[100:101], s[40:41], 0, v[16:17]
	;; [unrolled: 1-line block ×7, first 2 shown]
	v_mov_b32_e32 v194, v155
	v_mov_b32_e32 v183, v157
	s_branch .LBB0_116
.LBB0_114:                              ;   in Loop: Header=BB0_116 Depth=1
	.loc	1 50 33                         ; attention_aot.py:50:33 @[ attention_aot.py:258:12 ]
	v_lshl_add_u64 v[16:17], v[80:81], 0, s[26:27]
	.loc	1 56 28                         ; attention_aot.py:56:28 @[ attention_aot.py:258:12 ]
	global_load_ushort v200, v[16:17], off
.LBB0_115:                              ;   in Loop: Header=BB0_116 Depth=1
	.loc	1 58 27                         ; attention_aot.py:58:27 @[ attention_aot.py:258:12 ]
	s_waitcnt lgkmcnt(11)
	v_mfma_f32_32x32x16_f16 v[16:31], v[44:47], v[214:217], 0
	.loc	1 51 34                         ; attention_aot.py:51:34 @[ attention_aot.py:258:12 ]
	v_add_u32_e32 v155, s62, v114
	v_add_u32_e32 v157, 64, v155
	;; [unrolled: 1-line block ×3, first 2 shown]
	.loc	1 51 44 is_stmt 0               ; attention_aot.py:51:44 @[ attention_aot.py:258:12 ]
	v_cmp_gt_i32_e32 vcc, s66, v157
	.loc	1 51 34                         ; attention_aot.py:51:34 @[ attention_aot.py:258:12 ]
	v_add_u32_e32 v250, 0x42, v155
	v_add_u32_e32 v251, 0x43, v155
	;; [unrolled: 1-line block ×3, first 2 shown]
	.loc	1 58 27 is_stmt 1               ; attention_aot.py:58:27 @[ attention_aot.py:258:12 ]
	s_waitcnt lgkmcnt(10)
	v_mfma_f32_32x32x16_f16 v[16:31], v[40:43], v[210:213], v[16:31]
	.loc	1 51 34                         ; attention_aot.py:51:34 @[ attention_aot.py:258:12 ]
	v_add_u32_e32 v253, 0x49, v155
	v_add_u32_e32 v254, 0x4a, v155
	v_add_u32_e32 v255, 0x4b, v155
	v_add_u32_e32 v48, 0x50, v155
	v_add_u32_e32 v49, 0x51, v155
	v_add_u32_e32 v50, 0x52, v155
	v_add_u32_e32 v51, 0x53, v155
	.loc	1 58 27                         ; attention_aot.py:58:27 @[ attention_aot.py:258:12 ]
	s_waitcnt lgkmcnt(9)
	v_mfma_f32_32x32x16_f16 v[16:31], v[36:39], v[206:209], v[16:31]
	.loc	1 51 34                         ; attention_aot.py:51:34 @[ attention_aot.py:258:12 ]
	v_add_u32_e32 v52, 0x58, v155
	v_add_u32_e32 v53, 0x59, v155
	v_add_u32_e32 v54, 0x5a, v155
	v_add_u32_e32 v55, 0x5b, v155
	v_add_u32_e32 v56, 0x60, v155
	v_add_u32_e32 v57, 0x61, v155
	v_add_u32_e32 v58, 0x62, v155
	.loc	1 58 27                         ; attention_aot.py:58:27 @[ attention_aot.py:258:12 ]
	;; [unrolled: 11-line block ×3, first 2 shown]
	s_waitcnt lgkmcnt(3)
	v_mfma_f32_32x32x16_f16 v[32:47], v[246:249], v[214:217], 0
	.loc	1 60 49                         ; attention_aot.py:60:49 @[ attention_aot.py:258:12 ]
	s_nop 2
	v_cndmask_b32_e32 v16, v170, v16, vcc
	.loc	1 51 44                         ; attention_aot.py:51:44 @[ attention_aot.py:258:12 ]
	v_cmp_gt_i32_e32 vcc, s66, v201
	.loc	1 51 34 is_stmt 0               ; attention_aot.py:51:34 @[ attention_aot.py:258:12 ]
	v_add_u32_e32 v66, 0x72, v155
	v_add_u32_e32 v67, 0x73, v155
	.loc	1 60 49 is_stmt 1               ; attention_aot.py:60:49 @[ attention_aot.py:258:12 ]
	v_cndmask_b32_e32 v17, v170, v17, vcc
	.loc	1 51 44                         ; attention_aot.py:51:44 @[ attention_aot.py:258:12 ]
	v_cmp_gt_i32_e32 vcc, s66, v250
	.loc	1 51 34 is_stmt 0               ; attention_aot.py:51:34 @[ attention_aot.py:258:12 ]
	v_add_u32_e32 v68, 0x78, v155
	.loc	1 58 27 is_stmt 1               ; attention_aot.py:58:27 @[ attention_aot.py:258:12 ]
	s_waitcnt lgkmcnt(2)
	v_mfma_f32_32x32x16_f16 v[32:47], v[242:245], v[210:213], v[32:47]
	.loc	1 60 49                         ; attention_aot.py:60:49 @[ attention_aot.py:258:12 ]
	v_cndmask_b32_e32 v18, v170, v18, vcc
	.loc	1 51 44                         ; attention_aot.py:51:44 @[ attention_aot.py:258:12 ]
	v_cmp_gt_i32_e32 vcc, s66, v251
	.loc	1 51 34 is_stmt 0               ; attention_aot.py:51:34 @[ attention_aot.py:258:12 ]
	v_add_u32_e32 v69, 0x79, v155
	v_add_u32_e32 v70, 0x7a, v155
	.loc	1 60 49 is_stmt 1               ; attention_aot.py:60:49 @[ attention_aot.py:258:12 ]
	v_cndmask_b32_e32 v19, v170, v19, vcc
	.loc	1 51 44                         ; attention_aot.py:51:44 @[ attention_aot.py:258:12 ]
	v_cmp_gt_i32_e32 vcc, s66, v252
	.loc	1 51 34 is_stmt 0               ; attention_aot.py:51:34 @[ attention_aot.py:258:12 ]
	v_add_u32_e32 v71, 0x7b, v155
	.loc	1 58 27 is_stmt 1               ; attention_aot.py:58:27 @[ attention_aot.py:258:12 ]
	s_waitcnt lgkmcnt(1)
	v_mfma_f32_32x32x16_f16 v[32:47], v[238:241], v[206:209], v[32:47]
	.loc	1 60 49                         ; attention_aot.py:60:49 @[ attention_aot.py:258:12 ]
	v_cndmask_b32_e32 v20, v170, v20, vcc
	.loc	1 51 44                         ; attention_aot.py:51:44 @[ attention_aot.py:258:12 ]
	v_cmp_gt_i32_e32 vcc, s66, v253
	.loc	1 56 28                         ; attention_aot.py:56:28 @[ attention_aot.py:258:12 ]
	ds_read_b64_tr_b16 v[230:231], v168 offset:24576
	ds_read_b64_tr_b16 v[226:227], v168 offset:26624
	;; [unrolled: 1-line block ×4, first 2 shown]
	.loc	1 60 49                         ; attention_aot.py:60:49 @[ attention_aot.py:258:12 ]
	v_cndmask_b32_e32 v21, v170, v21, vcc
	.loc	1 51 44                         ; attention_aot.py:51:44 @[ attention_aot.py:258:12 ]
	v_cmp_gt_i32_e32 vcc, s66, v254
	.loc	1 56 28                         ; attention_aot.py:56:28 @[ attention_aot.py:258:12 ]
	ds_read_b64_tr_b16 v[232:233], v169 offset:25600
	ds_read_b64_tr_b16 v[228:229], v169 offset:27648
	;; [unrolled: 1-line block ×4, first 2 shown]
	.loc	1 60 49                         ; attention_aot.py:60:49 @[ attention_aot.py:258:12 ]
	v_cndmask_b32_e32 v22, v170, v22, vcc
	.loc	1 51 44                         ; attention_aot.py:51:44 @[ attention_aot.py:258:12 ]
	v_cmp_gt_i32_e32 vcc, s66, v255
	.loc	1 58 27                         ; attention_aot.py:58:27 @[ attention_aot.py:258:12 ]
	s_waitcnt lgkmcnt(8)
	v_mfma_f32_32x32x16_f16 v[32:47], v[234:237], v[202:205], v[32:47]
	.loc	1 50 33                         ; attention_aot.py:50:33 @[ attention_aot.py:258:12 ]
	s_add_i32 s4, s62, 64
	.loc	1 60 49                         ; attention_aot.py:60:49 @[ attention_aot.py:258:12 ]
	v_cndmask_b32_e32 v23, v170, v23, vcc
	.loc	1 51 44                         ; attention_aot.py:51:44 @[ attention_aot.py:258:12 ]
	v_cmp_gt_i32_e32 vcc, s66, v48
	.loc	1 83 18                         ; attention_aot.py:83:18 @[ attention_aot.py:258:12 ]
	v_mul_f32_e32 v48, v156, v16
	.loc	1 50 33                         ; attention_aot.py:50:33 @[ attention_aot.py:258:12 ]
	s_add_i32 s5, s62, 0x80
	.loc	1 60 49                         ; attention_aot.py:60:49 @[ attention_aot.py:258:12 ]
	v_cndmask_b32_e32 v24, v170, v24, vcc
	.loc	1 51 44                         ; attention_aot.py:51:44 @[ attention_aot.py:258:12 ]
	v_cmp_gt_i32_e32 vcc, s66, v49
	.loc	1 83 18                         ; attention_aot.py:83:18 @[ attention_aot.py:258:12 ]
	v_mul_f32_e32 v49, v156, v17
.Ltmp128:
	.loc	2 170 27                        ; standard.py:170:27 @[ standard.py:191:40 @[ attention_aot.py:86:46 @[ attention_aot.py:258:12 ] ] ]
	v_max_f32_e32 v48, v48, v49
.Ltmp129:
	.loc	1 60 49                         ; attention_aot.py:60:49 @[ attention_aot.py:258:12 ]
	v_cndmask_b32_e32 v25, v170, v25, vcc
	.loc	1 51 44                         ; attention_aot.py:51:44 @[ attention_aot.py:258:12 ]
	v_cmp_gt_i32_e32 vcc, s66, v50
	.loc	1 83 18                         ; attention_aot.py:83:18 @[ attention_aot.py:258:12 ]
	v_mul_f32_e32 v50, v156, v18
	.loc	1 50 33                         ; attention_aot.py:50:33 @[ attention_aot.py:258:12 ]
	v_lshl_add_u64 v[80:81], v[80:81], 0, s[60:61]
	.loc	1 60 49                         ; attention_aot.py:60:49 @[ attention_aot.py:258:12 ]
	v_cndmask_b32_e32 v26, v170, v26, vcc
	.loc	1 51 44                         ; attention_aot.py:51:44 @[ attention_aot.py:258:12 ]
	v_cmp_gt_i32_e32 vcc, s66, v51
	.loc	1 83 18                         ; attention_aot.py:83:18 @[ attention_aot.py:258:12 ]
	v_mul_f32_e32 v51, v156, v19
.Ltmp130:
	.loc	2 170 27                        ; standard.py:170:27 @[ standard.py:191:40 @[ attention_aot.py:86:46 @[ attention_aot.py:258:12 ] ] ]
	v_max3_f32 v48, v48, v50, v51
.Ltmp131:
	.loc	1 60 49                         ; attention_aot.py:60:49 @[ attention_aot.py:258:12 ]
	v_cndmask_b32_e32 v27, v170, v27, vcc
	.loc	1 51 44                         ; attention_aot.py:51:44 @[ attention_aot.py:258:12 ]
	v_cmp_gt_i32_e32 vcc, s66, v52
	.loc	1 83 18                         ; attention_aot.py:83:18 @[ attention_aot.py:258:12 ]
	v_mul_f32_e32 v52, v156, v20
	.loc	1 50 33                         ; attention_aot.py:50:33 @[ attention_aot.py:258:12 ]
	v_lshl_add_u64 v[82:83], v[82:83], 0, s[60:61]
	.loc	1 60 49                         ; attention_aot.py:60:49 @[ attention_aot.py:258:12 ]
	v_cndmask_b32_e32 v28, v170, v28, vcc
	.loc	1 51 44                         ; attention_aot.py:51:44 @[ attention_aot.py:258:12 ]
	v_cmp_gt_i32_e32 vcc, s66, v53
	.loc	1 83 18                         ; attention_aot.py:83:18 @[ attention_aot.py:258:12 ]
	v_mul_f32_e32 v53, v156, v21
.Ltmp132:
	.loc	2 170 27                        ; standard.py:170:27 @[ standard.py:191:40 @[ attention_aot.py:86:46 @[ attention_aot.py:258:12 ] ] ]
	v_max3_f32 v48, v48, v52, v53
.Ltmp133:
	.loc	1 60 49                         ; attention_aot.py:60:49 @[ attention_aot.py:258:12 ]
	v_cndmask_b32_e32 v29, v170, v29, vcc
	.loc	1 51 44                         ; attention_aot.py:51:44 @[ attention_aot.py:258:12 ]
	v_cmp_gt_i32_e32 vcc, s66, v54
	.loc	1 83 18                         ; attention_aot.py:83:18 @[ attention_aot.py:258:12 ]
	v_mul_f32_e32 v54, v156, v22
	.loc	1 50 33                         ; attention_aot.py:50:33 @[ attention_aot.py:258:12 ]
	v_lshl_add_u64 v[84:85], v[84:85], 0, s[60:61]
	.loc	1 60 49                         ; attention_aot.py:60:49 @[ attention_aot.py:258:12 ]
	v_cndmask_b32_e32 v30, v170, v30, vcc
	.loc	1 51 44                         ; attention_aot.py:51:44 @[ attention_aot.py:258:12 ]
	v_cmp_gt_i32_e32 vcc, s66, v55
	.loc	1 83 18                         ; attention_aot.py:83:18 @[ attention_aot.py:258:12 ]
	v_mul_f32_e32 v55, v156, v23
.Ltmp134:
	.loc	2 170 27                        ; standard.py:170:27 @[ standard.py:191:40 @[ attention_aot.py:86:46 @[ attention_aot.py:258:12 ] ] ]
	v_max3_f32 v48, v48, v54, v55
.Ltmp135:
	.loc	1 60 49                         ; attention_aot.py:60:49 @[ attention_aot.py:258:12 ]
	v_cndmask_b32_e32 v31, v170, v31, vcc
	.loc	1 51 44                         ; attention_aot.py:51:44 @[ attention_aot.py:258:12 ]
	v_cmp_gt_i32_e32 vcc, s66, v56
	.loc	1 83 18                         ; attention_aot.py:83:18 @[ attention_aot.py:258:12 ]
	v_mul_f32_e32 v56, v156, v24
	.loc	1 50 33                         ; attention_aot.py:50:33 @[ attention_aot.py:258:12 ]
	v_lshl_add_u64 v[86:87], v[86:87], 0, s[60:61]
	.loc	1 60 49                         ; attention_aot.py:60:49 @[ attention_aot.py:258:12 ]
	v_cndmask_b32_e32 v32, v170, v32, vcc
	.loc	1 51 44                         ; attention_aot.py:51:44 @[ attention_aot.py:258:12 ]
	v_cmp_gt_i32_e32 vcc, s66, v57
	.loc	1 83 18                         ; attention_aot.py:83:18 @[ attention_aot.py:258:12 ]
	v_mul_f32_e32 v57, v156, v25
.Ltmp136:
	.loc	2 170 27                        ; standard.py:170:27 @[ standard.py:191:40 @[ attention_aot.py:86:46 @[ attention_aot.py:258:12 ] ] ]
	v_max3_f32 v48, v48, v56, v57
.Ltmp137:
	.loc	1 60 49                         ; attention_aot.py:60:49 @[ attention_aot.py:258:12 ]
	v_cndmask_b32_e32 v33, v170, v33, vcc
	.loc	1 51 44                         ; attention_aot.py:51:44 @[ attention_aot.py:258:12 ]
	v_cmp_gt_i32_e32 vcc, s66, v58
	.loc	1 83 18                         ; attention_aot.py:83:18 @[ attention_aot.py:258:12 ]
	v_mul_f32_e32 v58, v156, v26
	.loc	1 50 33                         ; attention_aot.py:50:33 @[ attention_aot.py:258:12 ]
	v_lshl_add_u64 v[88:89], v[88:89], 0, s[60:61]
	.loc	1 60 49                         ; attention_aot.py:60:49 @[ attention_aot.py:258:12 ]
	v_cndmask_b32_e32 v34, v170, v34, vcc
	.loc	1 51 44                         ; attention_aot.py:51:44 @[ attention_aot.py:258:12 ]
	v_cmp_gt_i32_e32 vcc, s66, v59
	.loc	1 83 18                         ; attention_aot.py:83:18 @[ attention_aot.py:258:12 ]
	v_mul_f32_e32 v59, v156, v27
.Ltmp138:
	.loc	2 170 27                        ; standard.py:170:27 @[ standard.py:191:40 @[ attention_aot.py:86:46 @[ attention_aot.py:258:12 ] ] ]
	v_max3_f32 v48, v48, v58, v59
.Ltmp139:
	.loc	1 60 49                         ; attention_aot.py:60:49 @[ attention_aot.py:258:12 ]
	v_cndmask_b32_e32 v35, v170, v35, vcc
	.loc	1 51 44                         ; attention_aot.py:51:44 @[ attention_aot.py:258:12 ]
	v_cmp_gt_i32_e32 vcc, s66, v60
	.loc	1 83 18                         ; attention_aot.py:83:18 @[ attention_aot.py:258:12 ]
	v_mul_f32_e32 v60, v156, v28
	.loc	1 50 33                         ; attention_aot.py:50:33 @[ attention_aot.py:258:12 ]
	v_lshl_add_u64 v[90:91], v[90:91], 0, s[60:61]
	.loc	1 60 49                         ; attention_aot.py:60:49 @[ attention_aot.py:258:12 ]
	v_cndmask_b32_e32 v36, v170, v36, vcc
	.loc	1 51 44                         ; attention_aot.py:51:44 @[ attention_aot.py:258:12 ]
	v_cmp_gt_i32_e32 vcc, s66, v61
	.loc	1 83 18                         ; attention_aot.py:83:18 @[ attention_aot.py:258:12 ]
	v_mul_f32_e32 v61, v156, v29
.Ltmp140:
	.loc	2 170 27                        ; standard.py:170:27 @[ standard.py:191:40 @[ attention_aot.py:86:46 @[ attention_aot.py:258:12 ] ] ]
	v_max3_f32 v48, v48, v60, v61
.Ltmp141:
	.loc	1 60 49                         ; attention_aot.py:60:49 @[ attention_aot.py:258:12 ]
	v_cndmask_b32_e32 v37, v170, v37, vcc
	.loc	1 51 44                         ; attention_aot.py:51:44 @[ attention_aot.py:258:12 ]
	v_cmp_gt_i32_e32 vcc, s66, v62
	.loc	1 83 18                         ; attention_aot.py:83:18 @[ attention_aot.py:258:12 ]
	v_mul_f32_e32 v62, v156, v30
	.loc	1 50 33                         ; attention_aot.py:50:33 @[ attention_aot.py:258:12 ]
	v_lshl_add_u64 v[92:93], v[92:93], 0, s[60:61]
	.loc	1 60 49                         ; attention_aot.py:60:49 @[ attention_aot.py:258:12 ]
	v_cndmask_b32_e32 v38, v170, v38, vcc
	.loc	1 51 44                         ; attention_aot.py:51:44 @[ attention_aot.py:258:12 ]
	v_cmp_gt_i32_e32 vcc, s66, v63
	.loc	1 83 18                         ; attention_aot.py:83:18 @[ attention_aot.py:258:12 ]
	v_mul_f32_e32 v63, v156, v31
.Ltmp142:
	.loc	2 170 27                        ; standard.py:170:27 @[ standard.py:191:40 @[ attention_aot.py:86:46 @[ attention_aot.py:258:12 ] ] ]
	v_max3_f32 v48, v48, v62, v63
.Ltmp143:
	.loc	1 60 49                         ; attention_aot.py:60:49 @[ attention_aot.py:258:12 ]
	v_cndmask_b32_e32 v39, v170, v39, vcc
	.loc	1 51 44                         ; attention_aot.py:51:44 @[ attention_aot.py:258:12 ]
	v_cmp_gt_i32_e32 vcc, s66, v64
	.loc	1 83 18                         ; attention_aot.py:83:18 @[ attention_aot.py:258:12 ]
	v_mul_f32_e32 v64, v156, v32
	.loc	1 50 33                         ; attention_aot.py:50:33 @[ attention_aot.py:258:12 ]
	v_lshl_add_u64 v[94:95], v[94:95], 0, s[60:61]
	.loc	1 60 49                         ; attention_aot.py:60:49 @[ attention_aot.py:258:12 ]
	v_cndmask_b32_e32 v40, v170, v40, vcc
	.loc	1 51 44                         ; attention_aot.py:51:44 @[ attention_aot.py:258:12 ]
	v_cmp_gt_i32_e32 vcc, s66, v65
	.loc	1 83 18                         ; attention_aot.py:83:18 @[ attention_aot.py:258:12 ]
	v_mul_f32_e32 v65, v156, v33
.Ltmp144:
	.loc	2 170 27                        ; standard.py:170:27 @[ standard.py:191:40 @[ attention_aot.py:86:46 @[ attention_aot.py:258:12 ] ] ]
	v_max3_f32 v48, v48, v64, v65
.Ltmp145:
	.loc	1 60 49                         ; attention_aot.py:60:49 @[ attention_aot.py:258:12 ]
	v_cndmask_b32_e32 v41, v170, v41, vcc
	.loc	1 51 44                         ; attention_aot.py:51:44 @[ attention_aot.py:258:12 ]
	v_cmp_gt_i32_e32 vcc, s66, v66
	.loc	1 83 18                         ; attention_aot.py:83:18 @[ attention_aot.py:258:12 ]
	v_mul_f32_e32 v66, v156, v34
	v_mul_f32_e32 v155, v156, v40
	.loc	1 60 49                         ; attention_aot.py:60:49 @[ attention_aot.py:258:12 ]
	v_cndmask_b32_e32 v42, v170, v42, vcc
	.loc	1 51 44                         ; attention_aot.py:51:44 @[ attention_aot.py:258:12 ]
	v_cmp_gt_i32_e32 vcc, s66, v67
	.loc	1 83 18                         ; attention_aot.py:83:18 @[ attention_aot.py:258:12 ]
	v_mul_f32_e32 v67, v156, v35
.Ltmp146:
	.loc	2 170 27                        ; standard.py:170:27 @[ standard.py:191:40 @[ attention_aot.py:86:46 @[ attention_aot.py:258:12 ] ] ]
	v_max3_f32 v48, v48, v66, v67
.Ltmp147:
	.loc	1 60 49                         ; attention_aot.py:60:49 @[ attention_aot.py:258:12 ]
	v_cndmask_b32_e32 v43, v170, v43, vcc
	.loc	1 51 44                         ; attention_aot.py:51:44 @[ attention_aot.py:258:12 ]
	v_cmp_gt_i32_e32 vcc, s66, v68
	.loc	1 83 18                         ; attention_aot.py:83:18 @[ attention_aot.py:258:12 ]
	v_mul_f32_e32 v68, v156, v36
	v_mul_f32_e32 v157, v156, v41
	.loc	1 60 49                         ; attention_aot.py:60:49 @[ attention_aot.py:258:12 ]
	v_cndmask_b32_e32 v44, v170, v44, vcc
	.loc	1 51 44                         ; attention_aot.py:51:44 @[ attention_aot.py:258:12 ]
	v_cmp_gt_i32_e32 vcc, s66, v69
	.loc	1 83 18                         ; attention_aot.py:83:18 @[ attention_aot.py:258:12 ]
	v_mul_f32_e32 v69, v156, v37
.Ltmp148:
	.loc	2 170 27                        ; standard.py:170:27 @[ standard.py:191:40 @[ attention_aot.py:86:46 @[ attention_aot.py:258:12 ] ] ]
	v_max3_f32 v48, v48, v68, v69
.Ltmp149:
	.loc	1 60 49                         ; attention_aot.py:60:49 @[ attention_aot.py:258:12 ]
	v_cndmask_b32_e32 v45, v170, v45, vcc
	.loc	1 51 44                         ; attention_aot.py:51:44 @[ attention_aot.py:258:12 ]
	v_cmp_gt_i32_e32 vcc, s66, v70
	.loc	1 83 18                         ; attention_aot.py:83:18 @[ attention_aot.py:258:12 ]
	v_mul_f32_e32 v70, v156, v38
	v_mul_f32_e32 v201, v156, v42
	.loc	1 60 49                         ; attention_aot.py:60:49 @[ attention_aot.py:258:12 ]
	v_cndmask_b32_e32 v46, v170, v46, vcc
	.loc	1 51 44                         ; attention_aot.py:51:44 @[ attention_aot.py:258:12 ]
	v_cmp_gt_i32_e32 vcc, s66, v71
	.loc	1 83 18                         ; attention_aot.py:83:18 @[ attention_aot.py:258:12 ]
	v_mul_f32_e32 v71, v156, v39
.Ltmp150:
	.loc	2 170 27                        ; standard.py:170:27 @[ standard.py:191:40 @[ attention_aot.py:86:46 @[ attention_aot.py:258:12 ] ] ]
	v_max3_f32 v48, v48, v70, v71
.Ltmp151:
	.loc	1 83 18                         ; attention_aot.py:83:18 @[ attention_aot.py:258:12 ]
	v_mul_f32_e32 v234, v156, v43
.Ltmp152:
	.loc	2 170 27                        ; standard.py:170:27 @[ standard.py:191:40 @[ attention_aot.py:86:46 @[ attention_aot.py:258:12 ] ] ]
	v_max3_f32 v48, v48, v155, v157
.Ltmp153:
	.loc	1 60 49                         ; attention_aot.py:60:49 @[ attention_aot.py:258:12 ]
	v_cndmask_b32_e32 v47, v170, v47, vcc
	.loc	1 83 18                         ; attention_aot.py:83:18 @[ attention_aot.py:258:12 ]
	v_mul_f32_e32 v235, v156, v44
	v_mul_f32_e32 v236, v156, v45
.Ltmp154:
	.loc	2 170 27                        ; standard.py:170:27 @[ standard.py:191:40 @[ attention_aot.py:86:46 @[ attention_aot.py:258:12 ] ] ]
	v_max3_f32 v48, v48, v201, v234
.Ltmp155:
	.loc	1 83 18                         ; attention_aot.py:83:18 @[ attention_aot.py:258:12 ]
	v_mul_f32_e32 v237, v156, v46
	v_mul_f32_e32 v238, v156, v47
.Ltmp156:
	.loc	2 170 27                        ; standard.py:170:27 @[ standard.py:191:40 @[ attention_aot.py:86:46 @[ attention_aot.py:258:12 ] ] ]
	v_max3_f32 v48, v48, v235, v236
	v_max3_f32 v48, v48, v237, v238
.Ltmp157:
	.loc	2 191 40                        ; standard.py:191:40 @[ attention_aot.py:86:46 @[ attention_aot.py:258:12 ] ]
	v_mov_b32_e32 v49, v48
	s_nop 1
	v_permlane32_swap_b32_e32 v48, v49
.Ltmp158:
	.loc	1 86 35                         ; attention_aot.py:86:35 @[ attention_aot.py:258:12 ]
	v_max3_f32 v155, v194, v48, v49
	.loc	1 87 22                         ; attention_aot.py:87:22 @[ attention_aot.py:258:12 ]
	v_fma_f32 v16, v156, v16, -v155
	v_fma_f32 v17, v156, v17, -v155
	v_fma_f32 v18, v156, v18, -v155
	.loc	1 89 25                         ; attention_aot.py:89:25 @[ attention_aot.py:258:12 ]
	v_exp_f32_e32 v48, v16
	v_exp_f32_e32 v17, v17
	.loc	1 87 22                         ; attention_aot.py:87:22 @[ attention_aot.py:258:12 ]
	v_fma_f32 v19, v156, v19, -v155
	.loc	1 89 25                         ; attention_aot.py:89:25 @[ attention_aot.py:258:12 ]
	v_exp_f32_e32 v18, v18
	.loc	1 87 22                         ; attention_aot.py:87:22 @[ attention_aot.py:258:12 ]
	v_fma_f32 v20, v156, v20, -v155
	.loc	1 89 25                         ; attention_aot.py:89:25 @[ attention_aot.py:258:12 ]
	;; [unrolled: 4-line block ×4, first 2 shown]
	v_exp_f32_e32 v21, v21
.Ltmp159:
	.loc	2 263 15                        ; standard.py:263:15 @[ standard.py:293:36 @[ attention_aot.py:90:25 @[ attention_aot.py:258:12 ] ] ]
	v_add_f32_e32 v16, v48, v17
.Ltmp160:
	.loc	1 87 22                         ; attention_aot.py:87:22 @[ attention_aot.py:258:12 ]
	v_fma_f32 v23, v156, v23, -v155
	.loc	1 89 25                         ; attention_aot.py:89:25 @[ attention_aot.py:258:12 ]
	v_exp_f32_e32 v22, v22
.Ltmp161:
	.loc	2 263 15                        ; standard.py:263:15 @[ standard.py:293:36 @[ attention_aot.py:90:25 @[ attention_aot.py:258:12 ] ] ]
	v_add_f32_e32 v16, v18, v16
.Ltmp162:
	.loc	1 87 22                         ; attention_aot.py:87:22 @[ attention_aot.py:258:12 ]
	v_fma_f32 v24, v156, v24, -v155
	.loc	1 89 25                         ; attention_aot.py:89:25 @[ attention_aot.py:258:12 ]
	v_exp_f32_e32 v23, v23
.Ltmp163:
	.loc	2 263 15                        ; standard.py:263:15 @[ standard.py:293:36 @[ attention_aot.py:90:25 @[ attention_aot.py:258:12 ] ] ]
	v_add_f32_e32 v16, v19, v16
.Ltmp164:
	.loc	1 87 22                         ; attention_aot.py:87:22 @[ attention_aot.py:258:12 ]
	v_fma_f32 v25, v156, v25, -v155
	.loc	1 89 25                         ; attention_aot.py:89:25 @[ attention_aot.py:258:12 ]
	v_exp_f32_e32 v24, v24
.Ltmp165:
	.loc	2 263 15                        ; standard.py:263:15 @[ standard.py:293:36 @[ attention_aot.py:90:25 @[ attention_aot.py:258:12 ] ] ]
	v_add_f32_e32 v16, v20, v16
.Ltmp166:
	.loc	1 87 22                         ; attention_aot.py:87:22 @[ attention_aot.py:258:12 ]
	v_fma_f32 v26, v156, v26, -v155
	.loc	1 89 25                         ; attention_aot.py:89:25 @[ attention_aot.py:258:12 ]
	v_exp_f32_e32 v25, v25
.Ltmp167:
	.loc	2 263 15                        ; standard.py:263:15 @[ standard.py:293:36 @[ attention_aot.py:90:25 @[ attention_aot.py:258:12 ] ] ]
	v_add_f32_e32 v16, v21, v16
.Ltmp168:
	.loc	1 87 22                         ; attention_aot.py:87:22 @[ attention_aot.py:258:12 ]
	v_fma_f32 v27, v156, v27, -v155
	.loc	1 89 25                         ; attention_aot.py:89:25 @[ attention_aot.py:258:12 ]
	v_exp_f32_e32 v26, v26
.Ltmp169:
	.loc	2 263 15                        ; standard.py:263:15 @[ standard.py:293:36 @[ attention_aot.py:90:25 @[ attention_aot.py:258:12 ] ] ]
	v_add_f32_e32 v16, v22, v16
.Ltmp170:
	.loc	1 87 22                         ; attention_aot.py:87:22 @[ attention_aot.py:258:12 ]
	v_fma_f32 v28, v156, v28, -v155
	.loc	1 89 25                         ; attention_aot.py:89:25 @[ attention_aot.py:258:12 ]
	v_exp_f32_e32 v27, v27
.Ltmp171:
	.loc	2 263 15                        ; standard.py:263:15 @[ standard.py:293:36 @[ attention_aot.py:90:25 @[ attention_aot.py:258:12 ] ] ]
	v_add_f32_e32 v16, v23, v16
.Ltmp172:
	.loc	1 87 22                         ; attention_aot.py:87:22 @[ attention_aot.py:258:12 ]
	v_fma_f32 v29, v156, v29, -v155
	v_fma_f32 v32, v156, v32, -v155
	.loc	1 89 25                         ; attention_aot.py:89:25 @[ attention_aot.py:258:12 ]
	v_exp_f32_e32 v28, v28
.Ltmp173:
	.loc	2 263 15                        ; standard.py:263:15 @[ standard.py:293:36 @[ attention_aot.py:90:25 @[ attention_aot.py:258:12 ] ] ]
	v_add_f32_e32 v16, v24, v16
.Ltmp174:
	.loc	1 87 22                         ; attention_aot.py:87:22 @[ attention_aot.py:258:12 ]
	v_fma_f32 v30, v156, v30, -v155
	v_fma_f32 v40, v156, v40, -v155
	.loc	1 89 25                         ; attention_aot.py:89:25 @[ attention_aot.py:258:12 ]
	v_exp_f32_e32 v29, v29
	v_exp_f32_e32 v32, v32
.Ltmp175:
	.loc	2 263 15                        ; standard.py:263:15 @[ standard.py:293:36 @[ attention_aot.py:90:25 @[ attention_aot.py:258:12 ] ] ]
	v_add_f32_e32 v16, v25, v16
.Ltmp176:
	.loc	1 87 22                         ; attention_aot.py:87:22 @[ attention_aot.py:258:12 ]
	v_fma_f32 v31, v156, v31, -v155
	.loc	1 89 25                         ; attention_aot.py:89:25 @[ attention_aot.py:258:12 ]
	v_exp_f32_e32 v30, v30
	v_exp_f32_e32 v40, v40
.Ltmp177:
	.loc	2 263 15                        ; standard.py:263:15 @[ standard.py:293:36 @[ attention_aot.py:90:25 @[ attention_aot.py:258:12 ] ] ]
	v_add_f32_e32 v16, v26, v16
.Ltmp178:
	.loc	1 92 35                         ; attention_aot.py:92:35 @[ attention_aot.py:258:12 ]
	v_sub_f32_e32 v49, v194, v155
	.loc	1 87 22                         ; attention_aot.py:87:22 @[ attention_aot.py:258:12 ]
	v_fma_f32 v33, v156, v33, -v155
	.loc	1 89 25                         ; attention_aot.py:89:25 @[ attention_aot.py:258:12 ]
	v_exp_f32_e32 v31, v31
.Ltmp179:
	.loc	2 263 15                        ; standard.py:263:15 @[ standard.py:293:36 @[ attention_aot.py:90:25 @[ attention_aot.py:258:12 ] ] ]
	v_add_f32_e32 v16, v27, v16
.Ltmp180:
	.loc	1 92 29                         ; attention_aot.py:92:29 @[ attention_aot.py:258:12 ]
	v_exp_f32_e32 v49, v49
	.loc	1 102 21                        ; attention_aot.py:102:21 @[ attention_aot.py:258:12 ]
	v_cvt_f16_f32_e32 v48, v48
	.loc	1 87 22                         ; attention_aot.py:87:22 @[ attention_aot.py:258:12 ]
	v_fma_f32 v41, v156, v41, -v155
	.loc	1 89 25                         ; attention_aot.py:89:25 @[ attention_aot.py:258:12 ]
	v_exp_f32_e32 v33, v33
.Ltmp181:
	.loc	2 263 15                        ; standard.py:263:15 @[ standard.py:293:36 @[ attention_aot.py:90:25 @[ attention_aot.py:258:12 ] ] ]
	v_add_f32_e32 v16, v28, v16
.Ltmp182:
	.loc	1 102 21                        ; attention_aot.py:102:21 @[ attention_aot.py:258:12 ]
	v_cvt_f16_f32_e32 v24, v24
	.loc	1 89 25                         ; attention_aot.py:89:25 @[ attention_aot.py:258:12 ]
	v_exp_f32_e32 v41, v41
.Ltmp183:
	.loc	2 263 15                        ; standard.py:263:15 @[ standard.py:293:36 @[ attention_aot.py:90:25 @[ attention_aot.py:258:12 ] ] ]
	v_add_f32_e32 v16, v29, v16
.Ltmp184:
	.loc	1 102 21                        ; attention_aot.py:102:21 @[ attention_aot.py:258:12 ]
	v_cvt_f16_f32_e32 v51, v32
.Ltmp185:
	.loc	2 263 15                        ; standard.py:263:15 @[ standard.py:293:36 @[ attention_aot.py:90:25 @[ attention_aot.py:258:12 ] ] ]
	v_add_f32_e32 v16, v30, v16
.Ltmp186:
	.loc	1 102 21                        ; attention_aot.py:102:21 @[ attention_aot.py:258:12 ]
	v_cvt_f16_f32_e32 v52, v40
	v_cvt_f16_f32_e32 v17, v17
	.loc	1 87 22                         ; attention_aot.py:87:22 @[ attention_aot.py:258:12 ]
	v_fma_f32 v34, v156, v34, -v155
.Ltmp187:
	.loc	2 263 15                        ; standard.py:263:15 @[ standard.py:293:36 @[ attention_aot.py:90:25 @[ attention_aot.py:258:12 ] ] ]
	v_add_f32_e32 v50, v31, v16
.Ltmp188:
	.loc	1 95 20                         ; attention_aot.py:95:20 @[ attention_aot.py:258:12 ]
	ds_write_b32 v171, v49
	s_waitcnt lgkmcnt(0)
	s_barrier
	ds_read_b32 v16, v172
	.loc	1 102 21                        ; attention_aot.py:102:21 @[ attention_aot.py:258:12 ]
	s_waitcnt lgkmcnt(0)
	s_barrier
	ds_write_b16 v173, v48
	ds_write_b16 v173, v24 offset:4096
	ds_write_b16 v173, v51 offset:8192
	;; [unrolled: 1-line block ×3, first 2 shown]
	v_cvt_f16_f32_e32 v24, v25
	.loc	1 87 22                         ; attention_aot.py:87:22 @[ attention_aot.py:258:12 ]
	v_fma_f32 v42, v156, v42, -v155
	.loc	1 89 25                         ; attention_aot.py:89:25 @[ attention_aot.py:258:12 ]
	v_exp_f32_e32 v34, v34
	.loc	1 102 21                        ; attention_aot.py:102:21 @[ attention_aot.py:258:12 ]
	v_cvt_f16_f32_e32 v25, v33
	.loc	1 89 25                         ; attention_aot.py:89:25 @[ attention_aot.py:258:12 ]
	v_exp_f32_e32 v42, v42
	.loc	1 102 21                        ; attention_aot.py:102:21 @[ attention_aot.py:258:12 ]
	v_cvt_f16_f32_e32 v48, v41
	ds_write_b16 v174, v17 offset:256
	ds_write_b16 v174, v24 offset:4352
	ds_write_b16 v174, v25 offset:8448
	ds_write_b16 v174, v48 offset:12544
	v_cvt_f16_f32_e32 v17, v18
	.loc	1 87 22                         ; attention_aot.py:87:22 @[ attention_aot.py:258:12 ]
	v_fma_f32 v35, v156, v35, -v155
	.loc	1 102 21                        ; attention_aot.py:102:21 @[ attention_aot.py:258:12 ]
	v_cvt_f16_f32_e32 v18, v26
	.loc	1 87 22                         ; attention_aot.py:87:22 @[ attention_aot.py:258:12 ]
	v_fma_f32 v43, v156, v43, -v155
	.loc	1 89 25                         ; attention_aot.py:89:25 @[ attention_aot.py:258:12 ]
	v_exp_f32_e32 v35, v35
	.loc	1 102 21                        ; attention_aot.py:102:21 @[ attention_aot.py:258:12 ]
	v_cvt_f16_f32_e32 v24, v34
	.loc	1 89 25                         ; attention_aot.py:89:25 @[ attention_aot.py:258:12 ]
	v_exp_f32_e32 v43, v43
	.loc	1 102 21                        ; attention_aot.py:102:21 @[ attention_aot.py:258:12 ]
	v_cvt_f16_f32_e32 v25, v42
	ds_write_b16 v175, v17 offset:512
	ds_write_b16 v175, v18 offset:4608
	ds_write_b16 v175, v24 offset:8704
	ds_write_b16 v175, v25 offset:12800
	v_cvt_f16_f32_e32 v17, v19
	.loc	1 87 22                         ; attention_aot.py:87:22 @[ attention_aot.py:258:12 ]
	v_fma_f32 v36, v156, v36, -v155
	.loc	1 102 21                        ; attention_aot.py:102:21 @[ attention_aot.py:258:12 ]
	;; [unrolled: 19-line block ×5, first 2 shown]
	v_cvt_f16_f32_e32 v18, v30
	.loc	1 87 22                         ; attention_aot.py:87:22 @[ attention_aot.py:258:12 ]
	v_fma_f32 v47, v156, v47, -v155
	.loc	1 89 25                         ; attention_aot.py:89:25 @[ attention_aot.py:258:12 ]
	v_exp_f32_e32 v39, v39
	.loc	1 102 21                        ; attention_aot.py:102:21 @[ attention_aot.py:258:12 ]
	v_cvt_f16_f32_e32 v19, v38
	.loc	1 89 25                         ; attention_aot.py:89:25 @[ attention_aot.py:258:12 ]
	v_exp_f32_e32 v47, v47
	.loc	1 102 21                        ; attention_aot.py:102:21 @[ attention_aot.py:258:12 ]
	v_cvt_f16_f32_e32 v20, v46
	ds_write_b16 v179, v17 offset:2560
	ds_write_b16 v179, v18 offset:6656
	;; [unrolled: 1-line block ×4, first 2 shown]
	v_cvt_f16_f32_e32 v17, v23
	v_cvt_f16_f32_e32 v18, v31
	;; [unrolled: 1-line block ×4, first 2 shown]
	ds_write_b16 v180, v17 offset:2816
	ds_write_b16 v180, v18 offset:6912
	;; [unrolled: 1-line block ×4, first 2 shown]
	s_waitcnt lgkmcnt(0)
	s_barrier
	ds_read_b64_tr_b16 v[18:19], v181
	ds_read_b64_tr_b16 v[22:23], v181 offset:4096
	ds_read_b64_tr_b16 v[26:27], v181 offset:8192
	;; [unrolled: 1-line block ×7, first 2 shown]
	.loc	1 104 31                        ; attention_aot.py:104:31 @[ attention_aot.py:258:12 ]
	v_pk_mul_f32 v[14:15], v[14:15], v[16:17] op_sel_hi:[1,0]
	v_pk_mul_f32 v[12:13], v[12:13], v[16:17] op_sel_hi:[1,0]
	;; [unrolled: 1-line block ×8, first 2 shown]
.Ltmp189:
	.loc	2 263 15                        ; standard.py:263:15 @[ standard.py:293:36 @[ attention_aot.py:90:25 @[ attention_aot.py:258:12 ] ] ]
	v_add_f32_e32 v16, v32, v50
	v_add_f32_e32 v16, v33, v16
.Ltmp190:
	.loc	1 104 31                        ; attention_aot.py:104:31 @[ attention_aot.py:258:12 ]
	s_waitcnt lgkmcnt(3)
	v_mfma_f32_32x32x16_f16 v[0:15], v[230:233], v[18:21], v[0:15]
.Ltmp191:
	.loc	2 263 15                        ; standard.py:263:15 @[ standard.py:293:36 @[ attention_aot.py:90:25 @[ attention_aot.py:258:12 ] ] ]
	v_add_f32_e32 v16, v34, v16
	v_add_f32_e32 v16, v35, v16
	v_add_f32_e32 v16, v36, v16
	v_add_f32_e32 v16, v37, v16
	v_add_f32_e32 v16, v38, v16
	v_add_f32_e32 v16, v39, v16
	v_add_f32_e32 v16, v40, v16
.Ltmp192:
	.loc	1 104 31                        ; attention_aot.py:104:31 @[ attention_aot.py:258:12 ]
	s_waitcnt lgkmcnt(2)
	v_mfma_f32_32x32x16_f16 v[0:15], v[226:229], v[22:25], v[0:15]
.Ltmp193:
	.loc	2 263 15                        ; standard.py:263:15 @[ standard.py:293:36 @[ attention_aot.py:90:25 @[ attention_aot.py:258:12 ] ] ]
	v_add_f32_e32 v16, v41, v16
	v_add_f32_e32 v16, v42, v16
	;; [unrolled: 1-line block ×7, first 2 shown]
.Ltmp194:
	.loc	1 104 31                        ; attention_aot.py:104:31 @[ attention_aot.py:258:12 ]
	s_waitcnt lgkmcnt(1)
	v_mfma_f32_32x32x16_f16 v[0:15], v[222:225], v[26:29], v[0:15]
.Ltmp195:
	.loc	2 293 36                        ; standard.py:293:36 @[ attention_aot.py:90:25 @[ attention_aot.py:258:12 ] ]
	v_mov_b32_e32 v17, v16
	s_nop 1
	v_permlane32_swap_b32_e32 v16, v17
.Ltmp196:
	.loc	2 263 15                        ; standard.py:263:15 @[ standard.py:293:36 @[ attention_aot.py:90:25 @[ attention_aot.py:258:12 ] ] ]
	v_add_f32_e32 v157, v16, v17
.Ltmp197:
	.loc	1 93 28                         ; attention_aot.py:93:28 @[ attention_aot.py:258:12 ]
	v_fmac_f32_e32 v157, v183, v49
	.loc	1 50 33                         ; attention_aot.py:50:33 @[ attention_aot.py:258:12 ]
	v_lshl_add_u64 v[96:97], v[96:97], 0, s[6:7]
	v_lshl_add_u64 v[98:99], v[98:99], 0, s[6:7]
	.loc	1 104 31                        ; attention_aot.py:104:31 @[ attention_aot.py:258:12 ]
	s_waitcnt lgkmcnt(0)
	v_mfma_f32_32x32x16_f16 v[0:15], v[218:221], v[52:55], v[0:15]
	.loc	1 50 33                         ; attention_aot.py:50:33 @[ attention_aot.py:258:12 ]
	v_lshl_add_u64 v[100:101], v[100:101], 0, s[6:7]
	v_lshl_add_u64 v[102:103], v[102:103], 0, s[6:7]
	v_lshl_add_u64 v[104:105], v[104:105], 0, s[6:7]
	v_lshl_add_u64 v[106:107], v[106:107], 0, s[6:7]
	v_lshl_add_u64 v[108:109], v[108:109], 0, s[6:7]
	v_lshl_add_u64 v[110:111], v[110:111], 0, s[6:7]
	s_cmp_lt_i32 s5, s23
	s_mov_b32 s62, s4
	v_mov_b32_e32 v194, v155
	v_mov_b32_e32 v183, v157
	.loc	1 54 22                         ; attention_aot.py:54:22 @[ attention_aot.py:258:12 ]
	s_waitcnt vmcnt(0)
	ds_write_b16 v146, v185 offset:16384
	ds_write_b16 v146, v187 offset:18432
	;; [unrolled: 1-line block ×8, first 2 shown]
	.loc	1 56 28                         ; attention_aot.py:56:28 @[ attention_aot.py:258:12 ]
	ds_write_b16 v148, v192 offset:24576
	ds_write_b16 v148, v195 offset:26624
	;; [unrolled: 1-line block ×8, first 2 shown]
	.loc	1 50 33                         ; attention_aot.py:50:33 @[ attention_aot.py:258:12 ]
	s_cbranch_scc0 .LBB0_148
.LBB0_116:                              ; =>This Inner Loop Header: Depth=1
	v_or_b32_e32 v16, 0x80, v150
	.loc	1 51 34                         ; attention_aot.py:51:34 @[ attention_aot.py:258:12 ]
	v_add_u32_e32 v16, s62, v16
	.loc	1 51 44 is_stmt 0               ; attention_aot.py:51:44 @[ attention_aot.py:258:12 ]
	v_cmp_gt_i32_e32 vcc, s66, v16
	v_mov_b32_e32 v184, 0
	v_mov_b32_e32 v185, 0
	.loc	1 54 22 is_stmt 1               ; attention_aot.py:54:22 @[ attention_aot.py:258:12 ]
	s_and_saveexec_b64 s[4:5], vcc
	s_cbranch_execz .LBB0_118
; %bb.117:                              ;   in Loop: Header=BB0_116 Depth=1
	.loc	1 108 23                        ; attention_aot.py:108:23 @[ attention_aot.py:258:12 ]
	v_lshl_add_u64 v[16:17], v[110:111], 0, s[26:27]
	.loc	1 54 22                         ; attention_aot.py:54:22 @[ attention_aot.py:258:12 ]
	global_load_ushort v185, v[16:17], off
.LBB0_118:                              ;   in Loop: Header=BB0_116 Depth=1
	.loc	1 0 22 is_stmt 0                ; attention_aot.py:0:22
	s_or_b64 exec, exec, s[4:5]
	.loc	1 54 22                         ; attention_aot.py:54:22 @[ attention_aot.py:258:12 ]
	s_and_saveexec_b64 s[4:5], vcc
	s_cbranch_execz .LBB0_120
; %bb.119:                              ;   in Loop: Header=BB0_116 Depth=1
	.loc	1 108 23 is_stmt 1              ; attention_aot.py:108:23 @[ attention_aot.py:258:12 ]
	v_lshl_add_u64 v[16:17], v[108:109], 0, s[26:27]
	.loc	1 54 22                         ; attention_aot.py:54:22 @[ attention_aot.py:258:12 ]
	global_load_ushort v184, v[16:17], off
.LBB0_120:                              ;   in Loop: Header=BB0_116 Depth=1
	.loc	1 0 22 is_stmt 0                ; attention_aot.py:0:22
	s_or_b64 exec, exec, s[4:5]
	v_mov_b32_e32 v186, 0
	v_mov_b32_e32 v187, 0
	.loc	1 54 22                         ; attention_aot.py:54:22 @[ attention_aot.py:258:12 ]
	s_and_saveexec_b64 s[4:5], vcc
	s_cbranch_execz .LBB0_122
; %bb.121:                              ;   in Loop: Header=BB0_116 Depth=1
	.loc	1 108 23 is_stmt 1              ; attention_aot.py:108:23 @[ attention_aot.py:258:12 ]
	v_lshl_add_u64 v[16:17], v[106:107], 0, s[26:27]
	.loc	1 54 22                         ; attention_aot.py:54:22 @[ attention_aot.py:258:12 ]
	global_load_ushort v187, v[16:17], off
.LBB0_122:                              ;   in Loop: Header=BB0_116 Depth=1
	.loc	1 0 22 is_stmt 0                ; attention_aot.py:0:22
	s_or_b64 exec, exec, s[4:5]
	.loc	1 54 22                         ; attention_aot.py:54:22 @[ attention_aot.py:258:12 ]
	s_and_saveexec_b64 s[4:5], vcc
	s_cbranch_execz .LBB0_124
; %bb.123:                              ;   in Loop: Header=BB0_116 Depth=1
	.loc	1 108 23 is_stmt 1              ; attention_aot.py:108:23 @[ attention_aot.py:258:12 ]
	v_lshl_add_u64 v[16:17], v[104:105], 0, s[26:27]
	.loc	1 54 22                         ; attention_aot.py:54:22 @[ attention_aot.py:258:12 ]
	global_load_ushort v186, v[16:17], off
.LBB0_124:                              ;   in Loop: Header=BB0_116 Depth=1
	.loc	1 0 22 is_stmt 0                ; attention_aot.py:0:22
	s_or_b64 exec, exec, s[4:5]
	v_mov_b32_e32 v188, 0
	v_mov_b32_e32 v189, 0
	.loc	1 54 22                         ; attention_aot.py:54:22 @[ attention_aot.py:258:12 ]
	s_and_saveexec_b64 s[4:5], vcc
	s_cbranch_execz .LBB0_126
; %bb.125:                              ;   in Loop: Header=BB0_116 Depth=1
	.loc	1 108 23 is_stmt 1              ; attention_aot.py:108:23 @[ attention_aot.py:258:12 ]
	v_lshl_add_u64 v[16:17], v[102:103], 0, s[26:27]
	.loc	1 54 22                         ; attention_aot.py:54:22 @[ attention_aot.py:258:12 ]
	global_load_ushort v189, v[16:17], off
.LBB0_126:                              ;   in Loop: Header=BB0_116 Depth=1
	;; [unrolled: 24-line block ×3, first 2 shown]
	.loc	1 0 22 is_stmt 0                ; attention_aot.py:0:22
	s_or_b64 exec, exec, s[4:5]
	.loc	1 54 22                         ; attention_aot.py:54:22 @[ attention_aot.py:258:12 ]
	s_and_saveexec_b64 s[4:5], vcc
	s_cbranch_execz .LBB0_132
; %bb.131:                              ;   in Loop: Header=BB0_116 Depth=1
	.loc	1 109 23 is_stmt 1              ; attention_aot.py:109:23 @[ attention_aot.py:258:12 ]
	v_lshl_add_u64 v[16:17], v[96:97], 0, s[26:27]
	.loc	1 54 22                         ; attention_aot.py:54:22 @[ attention_aot.py:258:12 ]
	global_load_ushort v190, v[16:17], off
.LBB0_132:                              ;   in Loop: Header=BB0_116 Depth=1
	.loc	1 0 22 is_stmt 0                ; attention_aot.py:0:22
	s_or_b64 exec, exec, s[4:5]
	.loc	1 54 22                         ; attention_aot.py:54:22 @[ attention_aot.py:258:12 ]
	s_waitcnt lgkmcnt(0)
	s_barrier
	ds_read_b64_tr_b16 v[44:45], v164 offset:16384
	ds_read_b64_tr_b16 v[40:41], v164 offset:18432
	;; [unrolled: 1-line block ×16, first 2 shown]
	.loc	1 51 34 is_stmt 1               ; attention_aot.py:51:34 @[ attention_aot.py:258:12 ]
	s_add_i32 s4, s67, s62
	s_add_i32 s5, s4, 0x80
	.loc	1 51 44 is_stmt 0               ; attention_aot.py:51:44 @[ attention_aot.py:258:12 ]
	s_cmp_ge_i32 s5, s66
	s_cbranch_scc1 .LBB0_140
; %bb.133:                              ;   in Loop: Header=BB0_116 Depth=1
	.loc	1 109 23 is_stmt 1              ; attention_aot.py:109:23 @[ attention_aot.py:258:12 ]
	v_lshl_add_u64 v[16:17], v[94:95], 0, s[26:27]
	.loc	1 56 28                         ; attention_aot.py:56:28 @[ attention_aot.py:258:12 ]
	global_load_ushort v192, v[16:17], off
	.loc	1 51 34                         ; attention_aot.py:51:34 @[ attention_aot.py:258:12 ]
	s_add_i32 s5, s4, 0x88
	.loc	1 51 44 is_stmt 0               ; attention_aot.py:51:44 @[ attention_aot.py:258:12 ]
	s_cmp_ge_i32 s5, s66
	.loc	1 56 28 is_stmt 1               ; attention_aot.py:56:28 @[ attention_aot.py:258:12 ]
	s_cbranch_scc0 .LBB0_141
.LBB0_134:                              ;   in Loop: Header=BB0_116 Depth=1
	.loc	1 0 28 is_stmt 0                ; attention_aot.py:0:28
	v_mov_b32_e32 v193, 0
	.loc	1 51 34 is_stmt 1               ; attention_aot.py:51:34 @[ attention_aot.py:258:12 ]
	s_add_i32 s5, s4, 0x90
	.loc	1 51 44 is_stmt 0               ; attention_aot.py:51:44 @[ attention_aot.py:258:12 ]
	s_cmp_ge_i32 s5, s66
	.loc	1 56 28 is_stmt 1               ; attention_aot.py:56:28 @[ attention_aot.py:258:12 ]
	s_cbranch_scc0 .LBB0_142
.LBB0_135:                              ;   in Loop: Header=BB0_116 Depth=1
	.loc	1 0 28 is_stmt 0                ; attention_aot.py:0:28
	v_mov_b32_e32 v195, 0
	.loc	1 51 34 is_stmt 1               ; attention_aot.py:51:34 @[ attention_aot.py:258:12 ]
	s_add_i32 s5, s4, 0x98
	.loc	1 51 44 is_stmt 0               ; attention_aot.py:51:44 @[ attention_aot.py:258:12 ]
	s_cmp_ge_i32 s5, s66
	.loc	1 56 28 is_stmt 1               ; attention_aot.py:56:28 @[ attention_aot.py:258:12 ]
	s_cbranch_scc0 .LBB0_143
.LBB0_136:                              ;   in Loop: Header=BB0_116 Depth=1
	.loc	1 0 28 is_stmt 0                ; attention_aot.py:0:28
	v_mov_b32_e32 v196, 0
	.loc	1 51 34 is_stmt 1               ; attention_aot.py:51:34 @[ attention_aot.py:258:12 ]
	s_add_i32 s5, s4, 0xa0
	.loc	1 51 44 is_stmt 0               ; attention_aot.py:51:44 @[ attention_aot.py:258:12 ]
	s_cmp_ge_i32 s5, s66
	.loc	1 56 28 is_stmt 1               ; attention_aot.py:56:28 @[ attention_aot.py:258:12 ]
	s_cbranch_scc0 .LBB0_144
.LBB0_137:                              ;   in Loop: Header=BB0_116 Depth=1
	.loc	1 0 28 is_stmt 0                ; attention_aot.py:0:28
	v_mov_b32_e32 v197, 0
	.loc	1 51 34 is_stmt 1               ; attention_aot.py:51:34 @[ attention_aot.py:258:12 ]
	s_add_i32 s5, s4, 0xa8
	.loc	1 51 44 is_stmt 0               ; attention_aot.py:51:44 @[ attention_aot.py:258:12 ]
	s_cmp_ge_i32 s5, s66
	.loc	1 56 28 is_stmt 1               ; attention_aot.py:56:28 @[ attention_aot.py:258:12 ]
	s_cbranch_scc0 .LBB0_145
.LBB0_138:                              ;   in Loop: Header=BB0_116 Depth=1
	.loc	1 0 28 is_stmt 0                ; attention_aot.py:0:28
	v_mov_b32_e32 v198, 0
	.loc	1 51 34 is_stmt 1               ; attention_aot.py:51:34 @[ attention_aot.py:258:12 ]
	s_add_i32 s5, s4, 0xb0
	.loc	1 51 44 is_stmt 0               ; attention_aot.py:51:44 @[ attention_aot.py:258:12 ]
	s_cmp_ge_i32 s5, s66
	.loc	1 56 28 is_stmt 1               ; attention_aot.py:56:28 @[ attention_aot.py:258:12 ]
	s_cbranch_scc0 .LBB0_146
.LBB0_139:                              ;   in Loop: Header=BB0_116 Depth=1
	.loc	1 0 28 is_stmt 0                ; attention_aot.py:0:28
	v_mov_b32_e32 v199, 0
	.loc	1 51 44 is_stmt 1               ; attention_aot.py:51:44 @[ attention_aot.py:258:12 ]
	s_addk_i32 s4, 0xb8
	s_cmp_ge_i32 s4, s66
	.loc	1 56 28                         ; attention_aot.py:56:28 @[ attention_aot.py:258:12 ]
	s_cbranch_scc0 .LBB0_114
	s_branch .LBB0_147
.LBB0_140:                              ;   in Loop: Header=BB0_116 Depth=1
	.loc	1 0 28 is_stmt 0                ; attention_aot.py:0:28
	v_mov_b32_e32 v192, 0
	.loc	1 51 34 is_stmt 1               ; attention_aot.py:51:34 @[ attention_aot.py:258:12 ]
	s_add_i32 s5, s4, 0x88
	.loc	1 51 44 is_stmt 0               ; attention_aot.py:51:44 @[ attention_aot.py:258:12 ]
	s_cmp_ge_i32 s5, s66
	.loc	1 56 28 is_stmt 1               ; attention_aot.py:56:28 @[ attention_aot.py:258:12 ]
	s_cbranch_scc1 .LBB0_134
.LBB0_141:                              ;   in Loop: Header=BB0_116 Depth=1
	.loc	1 109 23                        ; attention_aot.py:109:23 @[ attention_aot.py:258:12 ]
	v_lshl_add_u64 v[16:17], v[92:93], 0, s[26:27]
	.loc	1 56 28                         ; attention_aot.py:56:28 @[ attention_aot.py:258:12 ]
	global_load_ushort v193, v[16:17], off
	.loc	1 51 34                         ; attention_aot.py:51:34 @[ attention_aot.py:258:12 ]
	s_add_i32 s5, s4, 0x90
	.loc	1 51 44 is_stmt 0               ; attention_aot.py:51:44 @[ attention_aot.py:258:12 ]
	s_cmp_ge_i32 s5, s66
	.loc	1 56 28 is_stmt 1               ; attention_aot.py:56:28 @[ attention_aot.py:258:12 ]
	s_cbranch_scc1 .LBB0_135
.LBB0_142:                              ;   in Loop: Header=BB0_116 Depth=1
	.loc	1 109 23                        ; attention_aot.py:109:23 @[ attention_aot.py:258:12 ]
	v_lshl_add_u64 v[16:17], v[90:91], 0, s[26:27]
	.loc	1 56 28                         ; attention_aot.py:56:28 @[ attention_aot.py:258:12 ]
	global_load_ushort v195, v[16:17], off
	.loc	1 51 34                         ; attention_aot.py:51:34 @[ attention_aot.py:258:12 ]
	s_add_i32 s5, s4, 0x98
	.loc	1 51 44 is_stmt 0               ; attention_aot.py:51:44 @[ attention_aot.py:258:12 ]
	s_cmp_ge_i32 s5, s66
	.loc	1 56 28 is_stmt 1               ; attention_aot.py:56:28 @[ attention_aot.py:258:12 ]
	s_cbranch_scc1 .LBB0_136
.LBB0_143:                              ;   in Loop: Header=BB0_116 Depth=1
	.loc	1 109 23                        ; attention_aot.py:109:23 @[ attention_aot.py:258:12 ]
	v_lshl_add_u64 v[16:17], v[88:89], 0, s[26:27]
	.loc	1 56 28                         ; attention_aot.py:56:28 @[ attention_aot.py:258:12 ]
	global_load_ushort v196, v[16:17], off
	.loc	1 51 34                         ; attention_aot.py:51:34 @[ attention_aot.py:258:12 ]
	s_add_i32 s5, s4, 0xa0
	.loc	1 51 44 is_stmt 0               ; attention_aot.py:51:44 @[ attention_aot.py:258:12 ]
	s_cmp_ge_i32 s5, s66
	.loc	1 56 28 is_stmt 1               ; attention_aot.py:56:28 @[ attention_aot.py:258:12 ]
	s_cbranch_scc1 .LBB0_137
.LBB0_144:                              ;   in Loop: Header=BB0_116 Depth=1
	.loc	1 109 23                        ; attention_aot.py:109:23 @[ attention_aot.py:258:12 ]
	v_lshl_add_u64 v[16:17], v[86:87], 0, s[26:27]
	.loc	1 56 28                         ; attention_aot.py:56:28 @[ attention_aot.py:258:12 ]
	global_load_ushort v197, v[16:17], off
	.loc	1 51 34                         ; attention_aot.py:51:34 @[ attention_aot.py:258:12 ]
	s_add_i32 s5, s4, 0xa8
	.loc	1 51 44 is_stmt 0               ; attention_aot.py:51:44 @[ attention_aot.py:258:12 ]
	s_cmp_ge_i32 s5, s66
	.loc	1 56 28 is_stmt 1               ; attention_aot.py:56:28 @[ attention_aot.py:258:12 ]
	s_cbranch_scc1 .LBB0_138
.LBB0_145:                              ;   in Loop: Header=BB0_116 Depth=1
	.loc	1 109 23                        ; attention_aot.py:109:23 @[ attention_aot.py:258:12 ]
	v_lshl_add_u64 v[16:17], v[84:85], 0, s[26:27]
	.loc	1 56 28                         ; attention_aot.py:56:28 @[ attention_aot.py:258:12 ]
	global_load_ushort v198, v[16:17], off
	.loc	1 51 34                         ; attention_aot.py:51:34 @[ attention_aot.py:258:12 ]
	s_add_i32 s5, s4, 0xb0
	.loc	1 51 44 is_stmt 0               ; attention_aot.py:51:44 @[ attention_aot.py:258:12 ]
	s_cmp_ge_i32 s5, s66
	.loc	1 56 28 is_stmt 1               ; attention_aot.py:56:28 @[ attention_aot.py:258:12 ]
	s_cbranch_scc1 .LBB0_139
.LBB0_146:                              ;   in Loop: Header=BB0_116 Depth=1
	.loc	1 109 23                        ; attention_aot.py:109:23 @[ attention_aot.py:258:12 ]
	v_lshl_add_u64 v[16:17], v[82:83], 0, s[26:27]
	.loc	1 56 28                         ; attention_aot.py:56:28 @[ attention_aot.py:258:12 ]
	global_load_ushort v199, v[16:17], off
	.loc	1 51 44                         ; attention_aot.py:51:44 @[ attention_aot.py:258:12 ]
	s_addk_i32 s4, 0xb8
	s_cmp_ge_i32 s4, s66
	.loc	1 56 28                         ; attention_aot.py:56:28 @[ attention_aot.py:258:12 ]
	s_cbranch_scc0 .LBB0_114
.LBB0_147:                              ;   in Loop: Header=BB0_116 Depth=1
	.loc	1 0 28 is_stmt 0                ; attention_aot.py:0:28
	v_mov_b32_e32 v200, 0
	.loc	1 56 28                         ; attention_aot.py:56:28 @[ attention_aot.py:258:12 ]
	s_branch .LBB0_115
.LBB0_148:                              ; %Flow728
	.loc	1 0 28                          ; attention_aot.py:0:28
	scratch_load_dwordx2 v[188:189], off, off offset:64 ; 8-byte Folded Reload
	scratch_load_dwordx2 v[190:191], off, off offset:72 ; 8-byte Folded Reload
	;; [unrolled: 1-line block ×4, first 2 shown]
.LBB0_149:                              ; %Flow730
	.loc	1 54 22 is_stmt 1               ; attention_aot.py:54:22 @[ attention_aot.py:258:12 ]
	v_add_u32_e32 v86, 0, v159
	v_add_u32_e32 v87, 0, v161
	;; [unrolled: 1-line block ×4, first 2 shown]
	.loc	1 56 28                         ; attention_aot.py:56:28 @[ attention_aot.py:258:12 ]
	v_add_u32_e32 v82, 0, v162
	v_add_u32_e32 v83, 0, v163
	.loc	1 54 22                         ; attention_aot.py:54:22 @[ attention_aot.py:258:12 ]
	s_waitcnt lgkmcnt(0)
	s_barrier
	ds_read_b64_tr_b16 v[168:169], v86 offset:16384
	ds_read_b64_tr_b16 v[164:165], v86 offset:18432
	;; [unrolled: 1-line block ×16, first 2 shown]
	.loc	1 56 28                         ; attention_aot.py:56:28 @[ attention_aot.py:258:12 ]
	ds_read_b64_tr_b16 v[158:159], v82 offset:24576
	ds_read_b64_tr_b16 v[106:107], v82 offset:26624
	;; [unrolled: 1-line block ×8, first 2 shown]
	s_load_dwordx4 s[4:7], s[0:1], 0x78
	.loc	1 58 27                         ; attention_aot.py:58:27 @[ attention_aot.py:258:12 ]
	v_cndmask_b32_e64 v16, 0, 1, s[24:25]
	v_cmp_ne_u32_e64 s[0:1], 1, v16
	s_andn2_b64 vcc, exec, s[24:25]
.Ltmp198:
	.loc	1 258 12                        ; attention_aot.py:258:12
	v_mov_b32_e32 v32, 0
	v_mov_b32_e32 v33, 0
	;; [unrolled: 1-line block ×32, first 2 shown]
	s_cbranch_vccnz .LBB0_151
; %bb.150:
.Ltmp199:
	.loc	1 58 27                         ; attention_aot.py:58:27 @[ attention_aot.py:258:12 ]
	s_waitcnt lgkmcnt(0)
	v_mfma_f32_32x32x16_f16 v[32:47], v[168:171], v[214:217], 0
	v_mfma_f32_32x32x16_f16 v[16:31], v[184:187], v[214:217], 0
	;; [unrolled: 1-line block ×8, first 2 shown]
.LBB0_151:
	.loc	1 50 33                         ; attention_aot.py:50:33 @[ attention_aot.py:258:12 ]
	s_ashr_i32 s19, s16, 31
	s_lshr_b32 s19, s19, 26
	s_add_i32 s19, s19, s16
	s_add_i32 s19, s19, 63
	s_ashr_i32 s19, s19, 6
	s_max_i32 s19, s19, 1
	s_lshl_b32 s19, s19, 6
	s_sub_i32 s19, s19, 64
	.loc	1 51 34                         ; attention_aot.py:51:34 @[ attention_aot.py:258:12 ]
	v_or_b32_e32 v48, s19, v114
	v_or_b32_e32 v49, s19, v142
	.loc	1 60 49                         ; attention_aot.py:60:49 @[ attention_aot.py:258:12 ]
	s_waitcnt lgkmcnt(0)
	v_mov_b32_e32 v94, 0xff800000
	.loc	1 51 44                         ; attention_aot.py:51:44 @[ attention_aot.py:258:12 ]
	v_cmp_gt_i32_e32 vcc, s66, v48
	.loc	1 51 34 is_stmt 0               ; attention_aot.py:51:34 @[ attention_aot.py:258:12 ]
	v_or_b32_e32 v50, s19, v143
	v_or_b32_e32 v51, s19, v144
	.loc	1 60 49 is_stmt 1               ; attention_aot.py:60:49 @[ attention_aot.py:258:12 ]
	v_cndmask_b32_e32 v32, v94, v32, vcc
	.loc	1 51 44                         ; attention_aot.py:51:44 @[ attention_aot.py:258:12 ]
	v_cmp_gt_i32_e32 vcc, s66, v49
	.loc	1 51 34 is_stmt 0               ; attention_aot.py:51:34 @[ attention_aot.py:258:12 ]
	v_or_b32_e32 v52, s19, v145
	v_or_b32_e32 v53, s19, v135
	.loc	1 60 49 is_stmt 1               ; attention_aot.py:60:49 @[ attention_aot.py:258:12 ]
	v_cndmask_b32_e32 v33, v94, v33, vcc
	;; [unrolled: 7-line block ×9, first 2 shown]
	.loc	1 51 44                         ; attention_aot.py:51:44 @[ attention_aot.py:258:12 ]
	v_cmp_gt_i32_e32 vcc, s66, v57
	.loc	1 83 18                         ; attention_aot.py:83:18 @[ attention_aot.py:258:12 ]
	v_mul_f32_e32 v49, v156, v33
	.loc	1 51 34                         ; attention_aot.py:51:34 @[ attention_aot.py:258:12 ]
	v_or_b32_e32 v68, s19, v124
	.loc	1 60 49                         ; attention_aot.py:60:49 @[ attention_aot.py:258:12 ]
	v_cndmask_b32_e32 v41, v94, v41, vcc
	.loc	1 51 44                         ; attention_aot.py:51:44 @[ attention_aot.py:258:12 ]
	v_cmp_gt_i32_e32 vcc, s66, v58
	.loc	1 83 18                         ; attention_aot.py:83:18 @[ attention_aot.py:258:12 ]
	v_mul_f32_e32 v50, v156, v34
	v_mul_f32_e32 v51, v156, v35
	.loc	1 60 49                         ; attention_aot.py:60:49 @[ attention_aot.py:258:12 ]
	v_cndmask_b32_e32 v42, v94, v42, vcc
	.loc	1 51 44                         ; attention_aot.py:51:44 @[ attention_aot.py:258:12 ]
	v_cmp_gt_i32_e32 vcc, s66, v59
	.loc	1 51 34 is_stmt 0               ; attention_aot.py:51:34 @[ attention_aot.py:258:12 ]
	v_or_b32_e32 v69, s19, v125
	.loc	1 83 18 is_stmt 1               ; attention_aot.py:83:18 @[ attention_aot.py:258:12 ]
	v_mul_f32_e32 v52, v156, v36
	.loc	1 60 49                         ; attention_aot.py:60:49 @[ attention_aot.py:258:12 ]
	v_cndmask_b32_e32 v43, v94, v43, vcc
	.loc	1 51 44                         ; attention_aot.py:51:44 @[ attention_aot.py:258:12 ]
	v_cmp_gt_i32_e32 vcc, s66, v60
	.loc	1 83 18                         ; attention_aot.py:83:18 @[ attention_aot.py:258:12 ]
	v_mul_f32_e32 v53, v156, v37
	.loc	1 51 34                         ; attention_aot.py:51:34 @[ attention_aot.py:258:12 ]
	v_or_b32_e32 v70, s19, v126
	.loc	1 60 49                         ; attention_aot.py:60:49 @[ attention_aot.py:258:12 ]
	v_cndmask_b32_e32 v44, v94, v44, vcc
	.loc	1 51 44                         ; attention_aot.py:51:44 @[ attention_aot.py:258:12 ]
	v_cmp_gt_i32_e32 vcc, s66, v61
	.loc	1 83 18                         ; attention_aot.py:83:18 @[ attention_aot.py:258:12 ]
	v_mul_f32_e32 v54, v156, v38
	v_mul_f32_e32 v55, v156, v39
	.loc	1 60 49                         ; attention_aot.py:60:49 @[ attention_aot.py:258:12 ]
	v_cndmask_b32_e32 v45, v94, v45, vcc
	.loc	1 51 44                         ; attention_aot.py:51:44 @[ attention_aot.py:258:12 ]
	v_cmp_gt_i32_e32 vcc, s66, v62
	.loc	1 51 34 is_stmt 0               ; attention_aot.py:51:34 @[ attention_aot.py:258:12 ]
	v_or_b32_e32 v71, s19, v127
	.loc	1 83 18 is_stmt 1               ; attention_aot.py:83:18 @[ attention_aot.py:258:12 ]
	v_mul_f32_e32 v56, v156, v40
	.loc	1 60 49                         ; attention_aot.py:60:49 @[ attention_aot.py:258:12 ]
	v_cndmask_b32_e32 v46, v94, v46, vcc
	.loc	1 51 44                         ; attention_aot.py:51:44 @[ attention_aot.py:258:12 ]
	v_cmp_gt_i32_e32 vcc, s66, v63
	.loc	1 83 18                         ; attention_aot.py:83:18 @[ attention_aot.py:258:12 ]
	v_mul_f32_e32 v57, v156, v41
	.loc	1 51 34                         ; attention_aot.py:51:34 @[ attention_aot.py:258:12 ]
	v_or_b32_e32 v80, s19, v128
	.loc	1 60 49                         ; attention_aot.py:60:49 @[ attention_aot.py:258:12 ]
	v_cndmask_b32_e32 v47, v94, v47, vcc
	.loc	1 51 44                         ; attention_aot.py:51:44 @[ attention_aot.py:258:12 ]
	v_cmp_gt_i32_e32 vcc, s66, v64
	.loc	1 83 18                         ; attention_aot.py:83:18 @[ attention_aot.py:258:12 ]
	v_mul_f32_e32 v58, v156, v42
	v_mul_f32_e32 v59, v156, v43
	.loc	1 60 49                         ; attention_aot.py:60:49 @[ attention_aot.py:258:12 ]
	v_cndmask_b32_e32 v16, v94, v16, vcc
	.loc	1 51 44                         ; attention_aot.py:51:44 @[ attention_aot.py:258:12 ]
	v_cmp_gt_i32_e32 vcc, s66, v65
	.loc	1 51 34 is_stmt 0               ; attention_aot.py:51:34 @[ attention_aot.py:258:12 ]
	v_or_b32_e32 v81, s19, v115
	.loc	1 83 18 is_stmt 1               ; attention_aot.py:83:18 @[ attention_aot.py:258:12 ]
	v_mul_f32_e32 v60, v156, v44
	.loc	1 60 49                         ; attention_aot.py:60:49 @[ attention_aot.py:258:12 ]
	v_cndmask_b32_e32 v48, v94, v17, vcc
	.loc	1 51 44                         ; attention_aot.py:51:44 @[ attention_aot.py:258:12 ]
	v_cmp_gt_i32_e32 vcc, s66, v66
	.loc	1 83 18                         ; attention_aot.py:83:18 @[ attention_aot.py:258:12 ]
	v_mul_f32_e32 v17, v156, v32
.Ltmp200:
	.loc	2 170 27                        ; standard.py:170:27 @[ standard.py:191:40 @[ attention_aot.py:86:46 @[ attention_aot.py:258:12 ] ] ]
	v_max_f32_e32 v17, v17, v49
.Ltmp201:
	.loc	1 60 49                         ; attention_aot.py:60:49 @[ attention_aot.py:258:12 ]
	v_cndmask_b32_e32 v18, v94, v18, vcc
	.loc	1 51 44                         ; attention_aot.py:51:44 @[ attention_aot.py:258:12 ]
	v_cmp_gt_i32_e32 vcc, s66, v67
.Ltmp202:
	.loc	2 170 27                        ; standard.py:170:27 @[ standard.py:191:40 @[ attention_aot.py:86:46 @[ attention_aot.py:258:12 ] ] ]
	v_max3_f32 v17, v17, v50, v51
	v_max3_f32 v17, v17, v52, v53
.Ltmp203:
	.loc	1 60 49                         ; attention_aot.py:60:49 @[ attention_aot.py:258:12 ]
	v_cndmask_b32_e32 v19, v94, v19, vcc
	.loc	1 51 44                         ; attention_aot.py:51:44 @[ attention_aot.py:258:12 ]
	v_cmp_gt_i32_e32 vcc, s66, v68
.Ltmp204:
	.loc	2 170 27                        ; standard.py:170:27 @[ standard.py:191:40 @[ attention_aot.py:86:46 @[ attention_aot.py:258:12 ] ] ]
	v_max3_f32 v17, v17, v54, v55
	v_max3_f32 v17, v17, v56, v57
.Ltmp205:
	.loc	1 60 49                         ; attention_aot.py:60:49 @[ attention_aot.py:258:12 ]
	v_cndmask_b32_e32 v20, v94, v20, vcc
	.loc	1 51 44                         ; attention_aot.py:51:44 @[ attention_aot.py:258:12 ]
	v_cmp_gt_i32_e32 vcc, s66, v69
	.loc	1 83 18                         ; attention_aot.py:83:18 @[ attention_aot.py:258:12 ]
	v_mul_f32_e32 v61, v156, v45
.Ltmp206:
	.loc	2 170 27                        ; standard.py:170:27 @[ standard.py:191:40 @[ attention_aot.py:86:46 @[ attention_aot.py:258:12 ] ] ]
	v_max3_f32 v17, v17, v58, v59
.Ltmp207:
	.loc	1 60 49                         ; attention_aot.py:60:49 @[ attention_aot.py:258:12 ]
	v_cndmask_b32_e32 v21, v94, v21, vcc
	.loc	1 51 44                         ; attention_aot.py:51:44 @[ attention_aot.py:258:12 ]
	v_cmp_gt_i32_e32 vcc, s66, v70
	.loc	1 51 34 is_stmt 0               ; attention_aot.py:51:34 @[ attention_aot.py:258:12 ]
	v_or_b32_e32 v88, s19, v116
	.loc	1 83 18 is_stmt 1               ; attention_aot.py:83:18 @[ attention_aot.py:258:12 ]
	v_mul_f32_e32 v62, v156, v46
	.loc	1 60 49                         ; attention_aot.py:60:49 @[ attention_aot.py:258:12 ]
	v_cndmask_b32_e32 v22, v94, v22, vcc
	.loc	1 51 44                         ; attention_aot.py:51:44 @[ attention_aot.py:258:12 ]
	v_cmp_gt_i32_e32 vcc, s66, v71
	.loc	1 83 18                         ; attention_aot.py:83:18 @[ attention_aot.py:258:12 ]
	v_mul_f32_e32 v63, v156, v47
.Ltmp208:
	.loc	2 170 27                        ; standard.py:170:27 @[ standard.py:191:40 @[ attention_aot.py:86:46 @[ attention_aot.py:258:12 ] ] ]
	v_max3_f32 v17, v17, v60, v61
.Ltmp209:
	.loc	1 60 49                         ; attention_aot.py:60:49 @[ attention_aot.py:258:12 ]
	v_cndmask_b32_e32 v23, v94, v23, vcc
	.loc	1 51 44                         ; attention_aot.py:51:44 @[ attention_aot.py:258:12 ]
	v_cmp_gt_i32_e32 vcc, s66, v80
	.loc	1 51 34 is_stmt 0               ; attention_aot.py:51:34 @[ attention_aot.py:258:12 ]
	v_or_b32_e32 v89, s19, v117
	.loc	1 83 18 is_stmt 1               ; attention_aot.py:83:18 @[ attention_aot.py:258:12 ]
	v_mul_f32_e32 v64, v156, v16
	.loc	1 60 49                         ; attention_aot.py:60:49 @[ attention_aot.py:258:12 ]
	v_cndmask_b32_e32 v24, v94, v24, vcc
	.loc	1 51 44                         ; attention_aot.py:51:44 @[ attention_aot.py:258:12 ]
	v_cmp_gt_i32_e32 vcc, s66, v81
	.loc	1 83 18                         ; attention_aot.py:83:18 @[ attention_aot.py:258:12 ]
	v_mul_f32_e32 v65, v156, v48
.Ltmp210:
	.loc	2 170 27                        ; standard.py:170:27 @[ standard.py:191:40 @[ attention_aot.py:86:46 @[ attention_aot.py:258:12 ] ] ]
	v_max3_f32 v17, v17, v62, v63
.Ltmp211:
	.loc	1 60 49                         ; attention_aot.py:60:49 @[ attention_aot.py:258:12 ]
	v_cndmask_b32_e32 v25, v94, v25, vcc
	.loc	1 51 44                         ; attention_aot.py:51:44 @[ attention_aot.py:258:12 ]
	v_cmp_gt_i32_e32 vcc, s66, v88
	.loc	1 51 34 is_stmt 0               ; attention_aot.py:51:34 @[ attention_aot.py:258:12 ]
	v_or_b32_e32 v90, s19, v118
	.loc	1 83 18 is_stmt 1               ; attention_aot.py:83:18 @[ attention_aot.py:258:12 ]
	v_mul_f32_e32 v66, v156, v18
	.loc	1 60 49                         ; attention_aot.py:60:49 @[ attention_aot.py:258:12 ]
	v_cndmask_b32_e32 v26, v94, v26, vcc
	.loc	1 51 44                         ; attention_aot.py:51:44 @[ attention_aot.py:258:12 ]
	v_cmp_gt_i32_e32 vcc, s66, v89
	.loc	1 83 18                         ; attention_aot.py:83:18 @[ attention_aot.py:258:12 ]
	v_mul_f32_e32 v67, v156, v19
.Ltmp212:
	.loc	2 170 27                        ; standard.py:170:27 @[ standard.py:191:40 @[ attention_aot.py:86:46 @[ attention_aot.py:258:12 ] ] ]
	v_max3_f32 v17, v17, v64, v65
.Ltmp213:
	.loc	1 51 34                         ; attention_aot.py:51:34 @[ attention_aot.py:258:12 ]
	v_or_b32_e32 v91, s19, v119
	.loc	1 60 49                         ; attention_aot.py:60:49 @[ attention_aot.py:258:12 ]
	v_cndmask_b32_e32 v27, v94, v27, vcc
	.loc	1 51 44                         ; attention_aot.py:51:44 @[ attention_aot.py:258:12 ]
	v_cmp_gt_i32_e32 vcc, s66, v90
	.loc	1 83 18                         ; attention_aot.py:83:18 @[ attention_aot.py:258:12 ]
	v_mul_f32_e32 v68, v156, v20
	v_mul_f32_e32 v69, v156, v21
.Ltmp214:
	.loc	2 170 27                        ; standard.py:170:27 @[ standard.py:191:40 @[ attention_aot.py:86:46 @[ attention_aot.py:258:12 ] ] ]
	v_max3_f32 v17, v17, v66, v67
.Ltmp215:
	.loc	1 51 34                         ; attention_aot.py:51:34 @[ attention_aot.py:258:12 ]
	v_or_b32_e32 v92, s19, v120
	.loc	1 60 49                         ; attention_aot.py:60:49 @[ attention_aot.py:258:12 ]
	v_cndmask_b32_e32 v28, v94, v28, vcc
	.loc	1 51 44                         ; attention_aot.py:51:44 @[ attention_aot.py:258:12 ]
	v_cmp_gt_i32_e32 vcc, s66, v91
	.loc	1 83 18                         ; attention_aot.py:83:18 @[ attention_aot.py:258:12 ]
	v_mul_f32_e32 v70, v156, v22
	v_mul_f32_e32 v71, v156, v23
.Ltmp216:
	.loc	2 170 27                        ; standard.py:170:27 @[ standard.py:191:40 @[ attention_aot.py:86:46 @[ attention_aot.py:258:12 ] ] ]
	v_max3_f32 v17, v17, v68, v69
.Ltmp217:
	.loc	1 51 34                         ; attention_aot.py:51:34 @[ attention_aot.py:258:12 ]
	v_or_b32_e32 v93, s19, v121
	.loc	1 60 49                         ; attention_aot.py:60:49 @[ attention_aot.py:258:12 ]
	v_cndmask_b32_e32 v29, v94, v29, vcc
	.loc	1 51 44                         ; attention_aot.py:51:44 @[ attention_aot.py:258:12 ]
	v_cmp_gt_i32_e32 vcc, s66, v92
	.loc	1 83 18                         ; attention_aot.py:83:18 @[ attention_aot.py:258:12 ]
	v_mul_f32_e32 v80, v156, v24
	v_mul_f32_e32 v81, v156, v25
.Ltmp218:
	.loc	2 170 27                        ; standard.py:170:27 @[ standard.py:191:40 @[ attention_aot.py:86:46 @[ attention_aot.py:258:12 ] ] ]
	v_max3_f32 v17, v17, v70, v71
.Ltmp219:
	.loc	1 60 49                         ; attention_aot.py:60:49 @[ attention_aot.py:258:12 ]
	v_cndmask_b32_e32 v30, v94, v30, vcc
	.loc	1 51 44                         ; attention_aot.py:51:44 @[ attention_aot.py:258:12 ]
	v_cmp_gt_i32_e32 vcc, s66, v93
	.loc	1 83 18                         ; attention_aot.py:83:18 @[ attention_aot.py:258:12 ]
	v_mul_f32_e32 v88, v156, v26
	v_mul_f32_e32 v89, v156, v27
.Ltmp220:
	.loc	2 170 27                        ; standard.py:170:27 @[ standard.py:191:40 @[ attention_aot.py:86:46 @[ attention_aot.py:258:12 ] ] ]
	v_max3_f32 v17, v17, v80, v81
.Ltmp221:
	.loc	1 60 49                         ; attention_aot.py:60:49 @[ attention_aot.py:258:12 ]
	v_cndmask_b32_e32 v31, v94, v31, vcc
	.loc	1 83 18                         ; attention_aot.py:83:18 @[ attention_aot.py:258:12 ]
	v_mul_f32_e32 v90, v156, v28
	v_mul_f32_e32 v91, v156, v29
.Ltmp222:
	.loc	2 170 27                        ; standard.py:170:27 @[ standard.py:191:40 @[ attention_aot.py:86:46 @[ attention_aot.py:258:12 ] ] ]
	v_max3_f32 v17, v17, v88, v89
.Ltmp223:
	.loc	1 83 18                         ; attention_aot.py:83:18 @[ attention_aot.py:258:12 ]
	v_mul_f32_e32 v92, v156, v30
	v_mul_f32_e32 v93, v156, v31
.Ltmp224:
	.loc	2 170 27                        ; standard.py:170:27 @[ standard.py:191:40 @[ attention_aot.py:86:46 @[ attention_aot.py:258:12 ] ] ]
	v_max3_f32 v17, v17, v90, v91
	v_max3_f32 v17, v17, v92, v93
.Ltmp225:
	.loc	2 191 40                        ; standard.py:191:40 @[ attention_aot.py:86:46 @[ attention_aot.py:258:12 ] ]
	v_mov_b32_e32 v49, v17
	s_nop 1
	v_permlane32_swap_b32_e32 v17, v49
.Ltmp226:
	.loc	1 86 35                         ; attention_aot.py:86:35 @[ attention_aot.py:258:12 ]
	v_max3_f32 v17, v155, v17, v49
	.loc	1 87 22                         ; attention_aot.py:87:22 @[ attention_aot.py:258:12 ]
	v_fma_f32 v32, v156, v32, -v17
	v_fma_f32 v33, v156, v33, -v17
	;; [unrolled: 1-line block ×3, first 2 shown]
	.loc	1 89 25                         ; attention_aot.py:89:25 @[ attention_aot.py:258:12 ]
	v_exp_f32_e32 v32, v32
	v_exp_f32_e32 v33, v33
	.loc	1 87 22                         ; attention_aot.py:87:22 @[ attention_aot.py:258:12 ]
	v_fma_f32 v35, v156, v35, -v17
	.loc	1 89 25                         ; attention_aot.py:89:25 @[ attention_aot.py:258:12 ]
	v_exp_f32_e32 v34, v34
	.loc	1 87 22                         ; attention_aot.py:87:22 @[ attention_aot.py:258:12 ]
	v_fma_f32 v36, v156, v36, -v17
	.loc	1 89 25                         ; attention_aot.py:89:25 @[ attention_aot.py:258:12 ]
	v_exp_f32_e32 v35, v35
	.loc	1 87 22                         ; attention_aot.py:87:22 @[ attention_aot.py:258:12 ]
	v_fma_f32 v37, v156, v37, -v17
	v_fma_f32 v16, v156, v16, -v17
	.loc	1 89 25                         ; attention_aot.py:89:25 @[ attention_aot.py:258:12 ]
	v_exp_f32_e32 v36, v36
	.loc	1 87 22                         ; attention_aot.py:87:22 @[ attention_aot.py:258:12 ]
	v_fma_f32 v38, v156, v38, -v17
	.loc	1 89 25                         ; attention_aot.py:89:25 @[ attention_aot.py:258:12 ]
	v_exp_f32_e32 v37, v37
	v_exp_f32_e32 v49, v16
.Ltmp227:
	.loc	2 263 15                        ; standard.py:263:15 @[ standard.py:293:36 @[ attention_aot.py:90:25 @[ attention_aot.py:258:12 ] ] ]
	v_add_f32_e32 v16, v32, v33
.Ltmp228:
	.loc	1 87 22                         ; attention_aot.py:87:22 @[ attention_aot.py:258:12 ]
	v_fma_f32 v39, v156, v39, -v17
	.loc	1 89 25                         ; attention_aot.py:89:25 @[ attention_aot.py:258:12 ]
	v_exp_f32_e32 v38, v38
.Ltmp229:
	.loc	2 263 15                        ; standard.py:263:15 @[ standard.py:293:36 @[ attention_aot.py:90:25 @[ attention_aot.py:258:12 ] ] ]
	v_add_f32_e32 v16, v34, v16
.Ltmp230:
	.loc	1 87 22                         ; attention_aot.py:87:22 @[ attention_aot.py:258:12 ]
	v_fma_f32 v40, v156, v40, -v17
	.loc	1 89 25                         ; attention_aot.py:89:25 @[ attention_aot.py:258:12 ]
	v_exp_f32_e32 v39, v39
.Ltmp231:
	.loc	2 263 15                        ; standard.py:263:15 @[ standard.py:293:36 @[ attention_aot.py:90:25 @[ attention_aot.py:258:12 ] ] ]
	v_add_f32_e32 v16, v35, v16
.Ltmp232:
	.loc	1 87 22                         ; attention_aot.py:87:22 @[ attention_aot.py:258:12 ]
	v_fma_f32 v41, v156, v41, -v17
	.loc	1 89 25                         ; attention_aot.py:89:25 @[ attention_aot.py:258:12 ]
	v_exp_f32_e32 v40, v40
.Ltmp233:
	.loc	2 263 15                        ; standard.py:263:15 @[ standard.py:293:36 @[ attention_aot.py:90:25 @[ attention_aot.py:258:12 ] ] ]
	v_add_f32_e32 v16, v36, v16
.Ltmp234:
	.loc	1 87 22                         ; attention_aot.py:87:22 @[ attention_aot.py:258:12 ]
	v_fma_f32 v42, v156, v42, -v17
	.loc	1 89 25                         ; attention_aot.py:89:25 @[ attention_aot.py:258:12 ]
	v_exp_f32_e32 v41, v41
.Ltmp235:
	.loc	2 263 15                        ; standard.py:263:15 @[ standard.py:293:36 @[ attention_aot.py:90:25 @[ attention_aot.py:258:12 ] ] ]
	v_add_f32_e32 v16, v37, v16
.Ltmp236:
	.loc	1 87 22                         ; attention_aot.py:87:22 @[ attention_aot.py:258:12 ]
	v_fma_f32 v43, v156, v43, -v17
	.loc	1 89 25                         ; attention_aot.py:89:25 @[ attention_aot.py:258:12 ]
	v_exp_f32_e32 v42, v42
.Ltmp237:
	.loc	2 263 15                        ; standard.py:263:15 @[ standard.py:293:36 @[ attention_aot.py:90:25 @[ attention_aot.py:258:12 ] ] ]
	v_add_f32_e32 v16, v38, v16
.Ltmp238:
	.loc	1 87 22                         ; attention_aot.py:87:22 @[ attention_aot.py:258:12 ]
	v_fma_f32 v44, v156, v44, -v17
	.loc	1 89 25                         ; attention_aot.py:89:25 @[ attention_aot.py:258:12 ]
	v_exp_f32_e32 v43, v43
.Ltmp239:
	.loc	2 263 15                        ; standard.py:263:15 @[ standard.py:293:36 @[ attention_aot.py:90:25 @[ attention_aot.py:258:12 ] ] ]
	v_add_f32_e32 v16, v39, v16
.Ltmp240:
	.loc	1 87 22                         ; attention_aot.py:87:22 @[ attention_aot.py:258:12 ]
	v_fma_f32 v45, v156, v45, -v17
	.loc	1 89 25                         ; attention_aot.py:89:25 @[ attention_aot.py:258:12 ]
	v_exp_f32_e32 v44, v44
.Ltmp241:
	.loc	2 263 15                        ; standard.py:263:15 @[ standard.py:293:36 @[ attention_aot.py:90:25 @[ attention_aot.py:258:12 ] ] ]
	v_add_f32_e32 v16, v40, v16
.Ltmp242:
	.loc	1 87 22                         ; attention_aot.py:87:22 @[ attention_aot.py:258:12 ]
	v_fma_f32 v46, v156, v46, -v17
	.loc	1 89 25                         ; attention_aot.py:89:25 @[ attention_aot.py:258:12 ]
	v_exp_f32_e32 v45, v45
.Ltmp243:
	.loc	2 263 15                        ; standard.py:263:15 @[ standard.py:293:36 @[ attention_aot.py:90:25 @[ attention_aot.py:258:12 ] ] ]
	v_add_f32_e32 v16, v41, v16
.Ltmp244:
	.loc	1 87 22                         ; attention_aot.py:87:22 @[ attention_aot.py:258:12 ]
	v_fma_f32 v47, v156, v47, -v17
	.loc	1 89 25                         ; attention_aot.py:89:25 @[ attention_aot.py:258:12 ]
	v_exp_f32_e32 v46, v46
.Ltmp245:
	.loc	2 263 15                        ; standard.py:263:15 @[ standard.py:293:36 @[ attention_aot.py:90:25 @[ attention_aot.py:258:12 ] ] ]
	v_add_f32_e32 v16, v42, v16
.Ltmp246:
	.loc	1 89 25                         ; attention_aot.py:89:25 @[ attention_aot.py:258:12 ]
	v_exp_f32_e32 v47, v47
.Ltmp247:
	.loc	2 263 15                        ; standard.py:263:15 @[ standard.py:293:36 @[ attention_aot.py:90:25 @[ attention_aot.py:258:12 ] ] ]
	v_add_f32_e32 v16, v43, v16
.Ltmp248:
	.loc	1 87 22                         ; attention_aot.py:87:22 @[ attention_aot.py:258:12 ]
	v_fma_f32 v48, v156, v48, -v17
.Ltmp249:
	.loc	2 263 15                        ; standard.py:263:15 @[ standard.py:293:36 @[ attention_aot.py:90:25 @[ attention_aot.py:258:12 ] ] ]
	v_add_f32_e32 v16, v44, v16
.Ltmp250:
	.loc	1 87 22                         ; attention_aot.py:87:22 @[ attention_aot.py:258:12 ]
	v_fma_f32 v18, v156, v18, -v17
	.loc	1 89 25                         ; attention_aot.py:89:25 @[ attention_aot.py:258:12 ]
	v_exp_f32_e32 v48, v48
.Ltmp251:
	.loc	2 263 15                        ; standard.py:263:15 @[ standard.py:293:36 @[ attention_aot.py:90:25 @[ attention_aot.py:258:12 ] ] ]
	v_add_f32_e32 v16, v45, v16
.Ltmp252:
	.loc	1 87 22                         ; attention_aot.py:87:22 @[ attention_aot.py:258:12 ]
	v_fma_f32 v19, v156, v19, -v17
	.loc	1 89 25                         ; attention_aot.py:89:25 @[ attention_aot.py:258:12 ]
	v_exp_f32_e32 v50, v18
.Ltmp253:
	.loc	2 263 15                        ; standard.py:263:15 @[ standard.py:293:36 @[ attention_aot.py:90:25 @[ attention_aot.py:258:12 ] ] ]
	v_add_f32_e32 v16, v46, v16
.Ltmp254:
	.loc	1 87 22                         ; attention_aot.py:87:22 @[ attention_aot.py:258:12 ]
	v_fma_f32 v20, v156, v20, -v17
	.loc	1 89 25                         ; attention_aot.py:89:25 @[ attention_aot.py:258:12 ]
	v_exp_f32_e32 v51, v19
.Ltmp255:
	.loc	2 263 15                        ; standard.py:263:15 @[ standard.py:293:36 @[ attention_aot.py:90:25 @[ attention_aot.py:258:12 ] ] ]
	v_add_f32_e32 v16, v47, v16
.Ltmp256:
	.loc	1 87 22                         ; attention_aot.py:87:22 @[ attention_aot.py:258:12 ]
	v_fma_f32 v21, v156, v21, -v17
	.loc	1 89 25                         ; attention_aot.py:89:25 @[ attention_aot.py:258:12 ]
	v_exp_f32_e32 v20, v20
.Ltmp257:
	.loc	2 263 15                        ; standard.py:263:15 @[ standard.py:293:36 @[ attention_aot.py:90:25 @[ attention_aot.py:258:12 ] ] ]
	v_add_f32_e32 v16, v49, v16
.Ltmp258:
	.loc	1 87 22                         ; attention_aot.py:87:22 @[ attention_aot.py:258:12 ]
	v_fma_f32 v22, v156, v22, -v17
	.loc	1 89 25                         ; attention_aot.py:89:25 @[ attention_aot.py:258:12 ]
	v_exp_f32_e32 v21, v21
.Ltmp259:
	.loc	2 263 15                        ; standard.py:263:15 @[ standard.py:293:36 @[ attention_aot.py:90:25 @[ attention_aot.py:258:12 ] ] ]
	v_add_f32_e32 v16, v48, v16
.Ltmp260:
	.loc	1 87 22                         ; attention_aot.py:87:22 @[ attention_aot.py:258:12 ]
	v_fma_f32 v23, v156, v23, -v17
	.loc	1 89 25                         ; attention_aot.py:89:25 @[ attention_aot.py:258:12 ]
	v_exp_f32_e32 v22, v22
.Ltmp261:
	.loc	2 263 15                        ; standard.py:263:15 @[ standard.py:293:36 @[ attention_aot.py:90:25 @[ attention_aot.py:258:12 ] ] ]
	v_add_f32_e32 v16, v50, v16
.Ltmp262:
	.loc	1 87 22                         ; attention_aot.py:87:22 @[ attention_aot.py:258:12 ]
	v_fma_f32 v24, v156, v24, -v17
	.loc	1 89 25                         ; attention_aot.py:89:25 @[ attention_aot.py:258:12 ]
	v_exp_f32_e32 v23, v23
.Ltmp263:
	.loc	2 263 15                        ; standard.py:263:15 @[ standard.py:293:36 @[ attention_aot.py:90:25 @[ attention_aot.py:258:12 ] ] ]
	v_add_f32_e32 v16, v51, v16
.Ltmp264:
	.loc	1 87 22                         ; attention_aot.py:87:22 @[ attention_aot.py:258:12 ]
	v_fma_f32 v25, v156, v25, -v17
	.loc	1 89 25                         ; attention_aot.py:89:25 @[ attention_aot.py:258:12 ]
	v_exp_f32_e32 v24, v24
.Ltmp265:
	.loc	2 263 15                        ; standard.py:263:15 @[ standard.py:293:36 @[ attention_aot.py:90:25 @[ attention_aot.py:258:12 ] ] ]
	v_add_f32_e32 v16, v20, v16
.Ltmp266:
	.loc	1 87 22                         ; attention_aot.py:87:22 @[ attention_aot.py:258:12 ]
	v_fma_f32 v26, v156, v26, -v17
	.loc	1 89 25                         ; attention_aot.py:89:25 @[ attention_aot.py:258:12 ]
	v_exp_f32_e32 v25, v25
.Ltmp267:
	.loc	2 263 15                        ; standard.py:263:15 @[ standard.py:293:36 @[ attention_aot.py:90:25 @[ attention_aot.py:258:12 ] ] ]
	v_add_f32_e32 v16, v21, v16
.Ltmp268:
	.loc	1 87 22                         ; attention_aot.py:87:22 @[ attention_aot.py:258:12 ]
	v_fma_f32 v27, v156, v27, -v17
	.loc	1 89 25                         ; attention_aot.py:89:25 @[ attention_aot.py:258:12 ]
	v_exp_f32_e32 v26, v26
.Ltmp269:
	.loc	2 263 15                        ; standard.py:263:15 @[ standard.py:293:36 @[ attention_aot.py:90:25 @[ attention_aot.py:258:12 ] ] ]
	v_add_f32_e32 v16, v22, v16
.Ltmp270:
	.loc	1 87 22                         ; attention_aot.py:87:22 @[ attention_aot.py:258:12 ]
	v_fma_f32 v28, v156, v28, -v17
	.loc	1 89 25                         ; attention_aot.py:89:25 @[ attention_aot.py:258:12 ]
	v_exp_f32_e32 v27, v27
.Ltmp271:
	.loc	2 263 15                        ; standard.py:263:15 @[ standard.py:293:36 @[ attention_aot.py:90:25 @[ attention_aot.py:258:12 ] ] ]
	v_add_f32_e32 v16, v23, v16
.Ltmp272:
	.loc	1 87 22                         ; attention_aot.py:87:22 @[ attention_aot.py:258:12 ]
	v_fma_f32 v29, v156, v29, -v17
	.loc	1 89 25                         ; attention_aot.py:89:25 @[ attention_aot.py:258:12 ]
	v_exp_f32_e32 v28, v28
.Ltmp273:
	.loc	2 263 15                        ; standard.py:263:15 @[ standard.py:293:36 @[ attention_aot.py:90:25 @[ attention_aot.py:258:12 ] ] ]
	v_add_f32_e32 v16, v24, v16
.Ltmp274:
	.loc	1 87 22                         ; attention_aot.py:87:22 @[ attention_aot.py:258:12 ]
	v_fma_f32 v30, v156, v30, -v17
	.loc	1 89 25                         ; attention_aot.py:89:25 @[ attention_aot.py:258:12 ]
	v_exp_f32_e32 v29, v29
.Ltmp275:
	.loc	2 263 15                        ; standard.py:263:15 @[ standard.py:293:36 @[ attention_aot.py:90:25 @[ attention_aot.py:258:12 ] ] ]
	v_add_f32_e32 v16, v25, v16
.Ltmp276:
	.loc	1 87 22                         ; attention_aot.py:87:22 @[ attention_aot.py:258:12 ]
	v_fma_f32 v31, v156, v31, -v17
	.loc	1 89 25                         ; attention_aot.py:89:25 @[ attention_aot.py:258:12 ]
	v_exp_f32_e32 v30, v30
.Ltmp277:
	.loc	2 263 15                        ; standard.py:263:15 @[ standard.py:293:36 @[ attention_aot.py:90:25 @[ attention_aot.py:258:12 ] ] ]
	v_add_f32_e32 v16, v26, v16
.Ltmp278:
	.loc	1 89 25                         ; attention_aot.py:89:25 @[ attention_aot.py:258:12 ]
	v_exp_f32_e32 v31, v31
.Ltmp279:
	.loc	2 263 15                        ; standard.py:263:15 @[ standard.py:293:36 @[ attention_aot.py:90:25 @[ attention_aot.py:258:12 ] ] ]
	v_add_f32_e32 v16, v27, v16
	v_add_f32_e32 v16, v28, v16
	;; [unrolled: 1-line block ×5, first 2 shown]
.Ltmp280:
	.loc	1 92 35                         ; attention_aot.py:92:35 @[ attention_aot.py:258:12 ]
	v_sub_f32_e32 v16, v155, v17
	.loc	1 92 29 is_stmt 0               ; attention_aot.py:92:29 @[ attention_aot.py:258:12 ]
	v_exp_f32_e32 v19, v16
	.loc	1 102 21 is_stmt 1              ; attention_aot.py:102:21 @[ attention_aot.py:258:12 ]
	v_mov_b32_e32 v53, 0x420
	v_cvt_f16_f32_e32 v32, v32
	v_lshlrev_b32_e32 v52, 1, v113
	v_cndmask_b32_e64 v53, v53, 0, s[2:3]
	v_cvt_f16_f32_e32 v40, v40
	.loc	1 95 20                         ; attention_aot.py:95:20 @[ attention_aot.py:258:12 ]
	s_lshl_b32 s19, s75, 1
	v_lshl_add_u32 v16, v113, 2, 0
	.loc	1 102 21                        ; attention_aot.py:102:21 @[ attention_aot.py:258:12 ]
	v_bitop3_b32 v52, s75, v53, v52 bitop3:0x36
	v_cvt_f16_f32_e32 v49, v49
	.loc	1 95 20                         ; attention_aot.py:95:20 @[ attention_aot.py:258:12 ]
	v_add_u32_e32 v80, s19, v16
	v_add_u32_e32 v81, s65, v16
	.loc	1 102 21                        ; attention_aot.py:102:21 @[ attention_aot.py:258:12 ]
	v_add_u32_e32 v88, 0, v52
	v_cvt_f16_f32_e32 v24, v24
	.loc	1 95 20                         ; attention_aot.py:95:20 @[ attention_aot.py:258:12 ]
	ds_write_b32 v80, v19
	s_waitcnt lgkmcnt(0)
	s_barrier
	ds_read_b32 v16, v81
	.loc	1 102 21                        ; attention_aot.py:102:21 @[ attention_aot.py:258:12 ]
	s_waitcnt lgkmcnt(0)
	s_barrier
	ds_write_b16 v88, v32
	ds_write_b16 v88, v40 offset:4096
	ds_write_b16 v88, v49 offset:8192
	ds_write_b16 v88, v24 offset:12288
	v_xor_b32_e32 v24, 8, v52
	v_add_u32_e32 v89, 0, v24
	v_cvt_f16_f32_e32 v24, v33
	v_cvt_f16_f32_e32 v32, v41
	v_cvt_f16_f32_e32 v33, v48
	v_cvt_f16_f32_e32 v25, v25
	ds_write_b16 v89, v24 offset:256
	ds_write_b16 v89, v32 offset:4352
	ds_write_b16 v89, v33 offset:8448
	ds_write_b16 v89, v25 offset:12544
	v_xor_b32_e32 v24, 16, v52
	v_add_u32_e32 v90, 0, v24
	v_cvt_f16_f32_e32 v24, v34
	v_cvt_f16_f32_e32 v25, v42
	v_cvt_f16_f32_e32 v32, v50
	v_cvt_f16_f32_e32 v26, v26
	ds_write_b16 v90, v24 offset:512
	;; [unrolled: 10-line block ×6, first 2 shown]
	ds_write_b16 v94, v21 offset:6656
	ds_write_b16 v94, v22 offset:10752
	;; [unrolled: 1-line block ×3, first 2 shown]
	v_xor_b32_e32 v20, 0x58, v52
	v_add_u32_e32 v95, 0, v20
	v_cvt_f16_f32_e32 v20, v39
	v_cvt_f16_f32_e32 v21, v47
	;; [unrolled: 1-line block ×4, first 2 shown]
	s_lshr_b32 s2, s65, 1
	ds_write_b16 v95, v20 offset:2816
	ds_write_b16 v95, v21 offset:6912
	;; [unrolled: 1-line block ×4, first 2 shown]
	v_lshl_or_b32 v20, v154, 6, v152
	v_and_or_b32 v21, v153, 56, s2
	v_bitop3_b32 v20, v53, v21, v20 bitop3:0x36
	v_add_u32_e32 v96, 0, v20
	v_xor_b32_e32 v20, 64, v20
	v_add_u32_e32 v97, 0, v20
	s_waitcnt lgkmcnt(0)
	s_barrier
	ds_read_b64_tr_b16 v[34:35], v96
	ds_read_b64_tr_b16 v[30:31], v96 offset:4096
	ds_read_b64_tr_b16 v[26:27], v96 offset:8192
	;; [unrolled: 1-line block ×7, first 2 shown]
.Ltmp281:
	.loc	2 293 36                        ; standard.py:293:36 @[ attention_aot.py:90:25 @[ attention_aot.py:258:12 ] ]
	v_mov_b32_e32 v20, v18
.Ltmp282:
	.loc	1 104 31                        ; attention_aot.py:104:31 @[ attention_aot.py:258:12 ]
	s_and_b64 vcc, exec, s[0:1]
.Ltmp283:
	.loc	2 293 36                        ; standard.py:293:36 @[ attention_aot.py:90:25 @[ attention_aot.py:258:12 ] ]
	s_nop 0
	v_permlane32_swap_b32_e32 v18, v20
	s_cbranch_vccnz .LBB0_153
.Ltmp284:
; %bb.152:
	.loc	1 104 31                        ; attention_aot.py:104:31 @[ attention_aot.py:258:12 ]
	v_pk_mul_f32 v[14:15], v[14:15], v[16:17] op_sel_hi:[1,0]
	v_pk_mul_f32 v[12:13], v[12:13], v[16:17] op_sel_hi:[1,0]
	;; [unrolled: 1-line block ×8, first 2 shown]
.Ltmp285:
	.loc	2 263 15                        ; standard.py:263:15 @[ standard.py:293:36 @[ attention_aot.py:90:25 @[ attention_aot.py:258:12 ] ] ]
	v_add_f32_e32 v16, v18, v20
.Ltmp286:
	.loc	1 93 28                         ; attention_aot.py:93:28 @[ attention_aot.py:258:12 ]
	v_fmac_f32_e32 v16, v157, v19
	.loc	1 104 31                        ; attention_aot.py:104:31 @[ attention_aot.py:258:12 ]
	s_waitcnt lgkmcnt(3)
	v_mfma_f32_32x32x16_f16 v[0:15], v[158:161], v[34:37], v[0:15]
	v_mov_b32_e32 v155, v17
	v_mov_b32_e32 v157, v16
	s_waitcnt lgkmcnt(2)
	v_mfma_f32_32x32x16_f16 v[0:15], v[106:109], v[30:33], v[0:15]
	s_waitcnt lgkmcnt(1)
	v_mfma_f32_32x32x16_f16 v[0:15], v[102:105], v[26:29], v[0:15]
	;; [unrolled: 2-line block ×3, first 2 shown]
.Ltmp287:
.LBB0_153:
	.loc	1 42 24                         ; attention_aot.py:42:24 @[ attention_aot.py:287:12 ]
	s_mul_i32 s2, s22, s16
	.loc	1 42 19 is_stmt 0               ; attention_aot.py:42:19 @[ attention_aot.py:287:12 ]
	s_ashr_i32 s3, s2, 31
	.loc	1 50 33 is_stmt 1               ; attention_aot.py:50:33 @[ attention_aot.py:287:12 ]
	s_cmp_lg_u32 s16, 0x7fffff80
	.loc	1 51 34                         ; attention_aot.py:51:34 @[ attention_aot.py:287:12 ]
	v_or_b32_e32 v16, s16, v150
	.loc	1 50 33                         ; attention_aot.py:50:33 @[ attention_aot.py:287:12 ]
	s_cselect_b64 s[0:1], -1, 0
	.loc	1 51 44                         ; attention_aot.py:51:44 @[ attention_aot.py:287:12 ]
	v_cmp_gt_i32_e32 vcc, s66, v16
	.loc	1 42 19                         ; attention_aot.py:42:19 @[ attention_aot.py:287:12 ]
	s_waitcnt vmcnt(3) lgkmcnt(0)
	v_lshl_add_u64 v[24:25], s[2:3], 1, v[188:189]
	.loc	1 50 33                         ; attention_aot.py:50:33 @[ attention_aot.py:287:12 ]
	s_and_b64 s[22:23], s[0:1], vcc
	v_mov_b32_e32 v48, 0
	v_mov_b32_e32 v49, 0
	.loc	1 54 22                         ; attention_aot.py:54:22 @[ attention_aot.py:287:12 ]
	s_and_saveexec_b64 s[24:25], s[22:23]
	s_cbranch_execz .LBB0_155
; %bb.154:
	global_load_ushort v49, v[24:25], off
.LBB0_155:
	.loc	1 0 22 is_stmt 0                ; attention_aot.py:0:22
	s_or_b64 exec, exec, s[24:25]
	.loc	1 42 19 is_stmt 1               ; attention_aot.py:42:19 @[ attention_aot.py:287:12 ]
	s_waitcnt vmcnt(2)
	v_lshl_add_u64 v[36:37], s[2:3], 1, v[190:191]
	.loc	1 54 22                         ; attention_aot.py:54:22 @[ attention_aot.py:287:12 ]
	s_and_saveexec_b64 s[24:25], s[22:23]
	s_cbranch_execz .LBB0_157
; %bb.156:
	global_load_ushort v48, v[36:37], off
.LBB0_157:
	.loc	1 0 22 is_stmt 0                ; attention_aot.py:0:22
	s_or_b64 exec, exec, s[24:25]
	.loc	1 42 19 is_stmt 1               ; attention_aot.py:42:19 @[ attention_aot.py:287:12 ]
	s_waitcnt vmcnt(1)
	v_lshl_add_u64 v[28:29], s[2:3], 1, v[192:193]
	v_mov_b32_e32 v50, 0
	v_mov_b32_e32 v51, 0
	.loc	1 54 22                         ; attention_aot.py:54:22 @[ attention_aot.py:287:12 ]
	s_and_saveexec_b64 s[24:25], s[22:23]
	s_cbranch_execz .LBB0_159
; %bb.158:
	global_load_ushort v51, v[28:29], off
.LBB0_159:
	.loc	1 0 22 is_stmt 0                ; attention_aot.py:0:22
	s_or_b64 exec, exec, s[24:25]
	.loc	1 42 19 is_stmt 1               ; attention_aot.py:42:19 @[ attention_aot.py:287:12 ]
	s_waitcnt vmcnt(0)
	v_lshl_add_u64 v[38:39], s[2:3], 1, v[194:195]
	.loc	1 54 22                         ; attention_aot.py:54:22 @[ attention_aot.py:287:12 ]
	s_and_saveexec_b64 s[24:25], s[22:23]
	s_cbranch_execz .LBB0_161
; %bb.160:
	global_load_ushort v50, v[38:39], off
.LBB0_161:
	.loc	1 0 22 is_stmt 0                ; attention_aot.py:0:22
	s_or_b64 exec, exec, s[24:25]
	.loc	1 42 19 is_stmt 1               ; attention_aot.py:42:19 @[ attention_aot.py:287:12 ]
	scratch_load_dwordx2 v[16:17], off, off ; 8-byte Folded Reload
	v_mov_b32_e32 v52, 0
	v_mov_b32_e32 v53, 0
	s_waitcnt vmcnt(0)
	v_lshl_add_u64 v[30:31], s[2:3], 1, v[16:17]
	.loc	1 54 22                         ; attention_aot.py:54:22 @[ attention_aot.py:287:12 ]
	s_and_saveexec_b64 s[24:25], s[22:23]
	s_cbranch_execz .LBB0_163
; %bb.162:
	global_load_ushort v53, v[30:31], off
.LBB0_163:
	.loc	1 0 22 is_stmt 0                ; attention_aot.py:0:22
	s_or_b64 exec, exec, s[24:25]
	.loc	1 42 19 is_stmt 1               ; attention_aot.py:42:19 @[ attention_aot.py:287:12 ]
	scratch_load_dwordx2 v[16:17], off, off offset:8 ; 8-byte Folded Reload
	s_waitcnt vmcnt(0)
	v_lshl_add_u64 v[40:41], s[2:3], 1, v[16:17]
	.loc	1 54 22                         ; attention_aot.py:54:22 @[ attention_aot.py:287:12 ]
	s_and_saveexec_b64 s[24:25], s[22:23]
	s_cbranch_execz .LBB0_165
; %bb.164:
	global_load_ushort v52, v[40:41], off
.LBB0_165:
	.loc	1 0 22 is_stmt 0                ; attention_aot.py:0:22
	s_or_b64 exec, exec, s[24:25]
	.loc	1 42 19 is_stmt 1               ; attention_aot.py:42:19 @[ attention_aot.py:287:12 ]
	scratch_load_dwordx2 v[16:17], off, off offset:16 ; 8-byte Folded Reload
	v_mov_b32_e32 v54, 0
	v_mov_b32_e32 v55, 0
	s_waitcnt vmcnt(0)
	v_lshl_add_u64 v[32:33], s[2:3], 1, v[16:17]
	.loc	1 54 22                         ; attention_aot.py:54:22 @[ attention_aot.py:287:12 ]
	s_and_saveexec_b64 s[24:25], s[22:23]
	s_cbranch_execz .LBB0_167
; %bb.166:
	global_load_ushort v55, v[32:33], off
.LBB0_167:
	.loc	1 0 22 is_stmt 0                ; attention_aot.py:0:22
	s_or_b64 exec, exec, s[24:25]
	.loc	1 42 19 is_stmt 1               ; attention_aot.py:42:19 @[ attention_aot.py:287:12 ]
	scratch_load_dwordx2 v[16:17], off, off offset:24 ; 8-byte Folded Reload
	s_waitcnt vmcnt(0)
	v_lshl_add_u64 v[42:43], s[2:3], 1, v[16:17]
	.loc	1 54 22                         ; attention_aot.py:54:22 @[ attention_aot.py:287:12 ]
	s_and_saveexec_b64 s[2:3], s[22:23]
	s_cbranch_execz .LBB0_169
; %bb.168:
	global_load_ushort v54, v[42:43], off
.LBB0_169:
	.loc	1 0 22 is_stmt 0                ; attention_aot.py:0:22
	s_or_b64 exec, exec, s[2:3]
	.loc	1 43 19 is_stmt 1               ; attention_aot.py:43:19 @[ attention_aot.py:287:12 ]
	scratch_load_dwordx2 v[16:17], off, off offset:32 ; 8-byte Folded Reload
	.loc	1 43 24 is_stmt 0               ; attention_aot.py:43:24 @[ attention_aot.py:287:12 ]
	s_mul_i32 s2, s8, s16
	.loc	1 43 19                         ; attention_aot.py:43:19 @[ attention_aot.py:287:12 ]
	s_ashr_i32 s3, s2, 31
	.loc	1 51 44 is_stmt 1               ; attention_aot.py:51:44 @[ attention_aot.py:287:12 ]
	s_cmp_ge_i32 s76, s66
	s_cselect_b64 s[22:23], -1, 0
	.loc	1 50 33                         ; attention_aot.py:50:33 @[ attention_aot.py:287:12 ]
	s_xor_b64 s[0:1], s[0:1], -1
	.loc	1 56 28                         ; attention_aot.py:56:28 @[ attention_aot.py:287:12 ]
	s_or_b64 s[22:23], s[0:1], s[22:23]
	s_and_b64 vcc, exec, s[22:23]
	.loc	1 43 19                         ; attention_aot.py:43:19 @[ attention_aot.py:287:12 ]
	s_waitcnt vmcnt(0)
	v_lshl_add_u64 v[16:17], s[2:3], 1, v[16:17]
	s_cbranch_vccnz .LBB0_171
; %bb.170:
	.loc	1 56 28                         ; attention_aot.py:56:28 @[ attention_aot.py:287:12 ]
	global_load_ushort v56, v[16:17], off
	s_branch .LBB0_172
.LBB0_171:
	.loc	1 0 28 is_stmt 0                ; attention_aot.py:0:28
	v_mov_b32_e32 v56, 0
.LBB0_172:
	.loc	1 43 19 is_stmt 1               ; attention_aot.py:43:19 @[ attention_aot.py:287:12 ]
	scratch_load_dwordx2 v[18:19], off, off offset:40 ; 8-byte Folded Reload
	.loc	1 51 44                         ; attention_aot.py:51:44 @[ attention_aot.py:287:12 ]
	s_cmp_ge_i32 s77, s66
	s_cselect_b64 s[22:23], -1, 0
	.loc	1 56 28                         ; attention_aot.py:56:28 @[ attention_aot.py:287:12 ]
	s_or_b64 s[22:23], s[0:1], s[22:23]
	s_and_b64 vcc, exec, s[22:23]
	.loc	1 43 19                         ; attention_aot.py:43:19 @[ attention_aot.py:287:12 ]
	s_waitcnt vmcnt(0)
	v_lshl_add_u64 v[18:19], s[2:3], 1, v[18:19]
	.loc	1 56 28                         ; attention_aot.py:56:28 @[ attention_aot.py:287:12 ]
	s_cbranch_vccnz .LBB0_174
; %bb.173:
	global_load_ushort v57, v[18:19], off
	s_branch .LBB0_175
.LBB0_174:
	.loc	1 0 28 is_stmt 0                ; attention_aot.py:0:28
	v_mov_b32_e32 v57, 0
.LBB0_175:
	.loc	1 43 19 is_stmt 1               ; attention_aot.py:43:19 @[ attention_aot.py:287:12 ]
	scratch_load_dwordx2 v[20:21], off, off offset:48 ; 8-byte Folded Reload
	.loc	1 51 44                         ; attention_aot.py:51:44 @[ attention_aot.py:287:12 ]
	s_cmp_ge_i32 s78, s66
	s_cselect_b64 s[22:23], -1, 0
	.loc	1 56 28                         ; attention_aot.py:56:28 @[ attention_aot.py:287:12 ]
	s_or_b64 s[22:23], s[0:1], s[22:23]
	s_and_b64 vcc, exec, s[22:23]
	.loc	1 43 19                         ; attention_aot.py:43:19 @[ attention_aot.py:287:12 ]
	s_waitcnt vmcnt(0)
	v_lshl_add_u64 v[20:21], s[2:3], 1, v[20:21]
	.loc	1 56 28                         ; attention_aot.py:56:28 @[ attention_aot.py:287:12 ]
	s_cbranch_vccnz .LBB0_177
; %bb.176:
	global_load_ushort v58, v[20:21], off
	s_branch .LBB0_178
.LBB0_177:
	.loc	1 0 28 is_stmt 0                ; attention_aot.py:0:28
	v_mov_b32_e32 v58, 0
.LBB0_178:
	;; [unrolled: 20-line block ×3, first 2 shown]
	.loc	1 51 44 is_stmt 1               ; attention_aot.py:51:44 @[ attention_aot.py:287:12 ]
	s_cmp_ge_i32 s80, s66
	s_cselect_b64 s[22:23], -1, 0
	.loc	1 56 28                         ; attention_aot.py:56:28 @[ attention_aot.py:287:12 ]
	s_or_b64 s[22:23], s[0:1], s[22:23]
	.loc	1 43 19                         ; attention_aot.py:43:19 @[ attention_aot.py:287:12 ]
	v_lshl_add_u64 v[26:27], s[2:3], 1, v[72:73]
	.loc	1 56 28                         ; attention_aot.py:56:28 @[ attention_aot.py:287:12 ]
	s_and_b64 vcc, exec, s[22:23]
	s_cbranch_vccnz .LBB0_183
; %bb.182:
	global_load_ushort v60, v[26:27], off
	s_branch .LBB0_184
.LBB0_183:
	.loc	1 0 28 is_stmt 0                ; attention_aot.py:0:28
	v_mov_b32_e32 v60, 0
.LBB0_184:
	.loc	1 51 44 is_stmt 1               ; attention_aot.py:51:44 @[ attention_aot.py:287:12 ]
	s_cmp_ge_i32 s81, s66
	s_cselect_b64 s[22:23], -1, 0
	.loc	1 56 28                         ; attention_aot.py:56:28 @[ attention_aot.py:287:12 ]
	s_or_b64 s[22:23], s[0:1], s[22:23]
	.loc	1 43 19                         ; attention_aot.py:43:19 @[ attention_aot.py:287:12 ]
	v_lshl_add_u64 v[34:35], s[2:3], 1, v[74:75]
	.loc	1 56 28                         ; attention_aot.py:56:28 @[ attention_aot.py:287:12 ]
	s_and_b64 vcc, exec, s[22:23]
	s_cbranch_vccnz .LBB0_186
; %bb.185:
	global_load_ushort v61, v[34:35], off
	s_branch .LBB0_187
.LBB0_186:
	.loc	1 0 28 is_stmt 0                ; attention_aot.py:0:28
	v_mov_b32_e32 v61, 0
.LBB0_187:
	;; [unrolled: 17-line block ×3, first 2 shown]
	.loc	1 51 44 is_stmt 1               ; attention_aot.py:51:44 @[ attention_aot.py:287:12 ]
	s_cmp_ge_i32 s83, s66
	.loc	1 43 19                         ; attention_aot.py:43:19 @[ attention_aot.py:287:12 ]
	v_lshl_add_u64 v[46:47], s[2:3], 1, v[78:79]
	.loc	1 51 44                         ; attention_aot.py:51:44 @[ attention_aot.py:287:12 ]
	s_cselect_b64 s[2:3], -1, 0
	.loc	1 56 28                         ; attention_aot.py:56:28 @[ attention_aot.py:287:12 ]
	s_or_b64 s[0:1], s[0:1], s[2:3]
	s_and_b64 vcc, exec, s[0:1]
	s_cbranch_vccnz .LBB0_192
; %bb.191:
	global_load_ushort v63, v[46:47], off
	s_branch .LBB0_193
.LBB0_192:
	.loc	1 0 28 is_stmt 0                ; attention_aot.py:0:28
	v_mov_b32_e32 v63, 0
.LBB0_193:
	.loc	1 50 33 is_stmt 1               ; attention_aot.py:50:33 @[ attention_aot.py:287:12 ]
	s_or_b32 s2, s16, 64
	.loc	1 54 22                         ; attention_aot.py:54:22 @[ attention_aot.py:287:12 ]
	ds_write_b16 v146, v49 offset:16384
	ds_write_b16 v146, v51 offset:18432
	ds_write_b16 v146, v53 offset:20480
	ds_write_b16 v146, v55 offset:22528
	ds_write_b16 v147, v48 offset:17408
	ds_write_b16 v147, v50 offset:19456
	ds_write_b16 v147, v52 offset:21504
	ds_write_b16 v147, v54 offset:23552
	.loc	1 56 28                         ; attention_aot.py:56:28 @[ attention_aot.py:287:12 ]
	ds_write_b16 v148, v56 offset:24576
	ds_write_b16 v148, v58 offset:26624
	s_waitcnt vmcnt(0)
	ds_write_b16 v148, v60 offset:28672
	ds_write_b16 v148, v62 offset:30720
	;; [unrolled: 1-line block ×6, first 2 shown]
	.loc	1 51 34                         ; attention_aot.py:51:34 @[ attention_aot.py:287:12 ]
	v_or_b32_e32 v48, s2, v150
	s_ashr_i32 s21, s20, 31
	.loc	1 51 44 is_stmt 0               ; attention_aot.py:51:44 @[ attention_aot.py:287:12 ]
	v_cmp_gt_i32_e32 vcc, s66, v48
	v_mov_b32_e32 v51, 0
	v_mov_b32_e32 v52, 0
	.loc	1 54 22 is_stmt 1               ; attention_aot.py:54:22 @[ attention_aot.py:287:12 ]
	s_and_saveexec_b64 s[0:1], vcc
	s_cbranch_execz .LBB0_195
; %bb.194:
	.loc	1 108 23                        ; attention_aot.py:108:23 @[ attention_aot.py:287:12 ]
	v_lshl_add_u64 v[24:25], s[20:21], 1, v[24:25]
	.loc	1 54 22                         ; attention_aot.py:54:22 @[ attention_aot.py:287:12 ]
	global_load_ushort v52, v[24:25], off
.LBB0_195:
	.loc	1 0 22 is_stmt 0                ; attention_aot.py:0:22
	s_or_b64 exec, exec, s[0:1]
	.loc	1 54 22                         ; attention_aot.py:54:22 @[ attention_aot.py:287:12 ]
	s_and_saveexec_b64 s[0:1], vcc
	s_cbranch_execz .LBB0_197
; %bb.196:
	.loc	1 108 23 is_stmt 1              ; attention_aot.py:108:23 @[ attention_aot.py:287:12 ]
	v_lshl_add_u64 v[24:25], s[20:21], 1, v[36:37]
	.loc	1 54 22                         ; attention_aot.py:54:22 @[ attention_aot.py:287:12 ]
	global_load_ushort v51, v[24:25], off
.LBB0_197:
	.loc	1 0 22 is_stmt 0                ; attention_aot.py:0:22
	s_or_b64 exec, exec, s[0:1]
	v_mov_b32_e32 v53, 0
	v_mov_b32_e32 v54, 0
	.loc	1 54 22                         ; attention_aot.py:54:22 @[ attention_aot.py:287:12 ]
	s_and_saveexec_b64 s[0:1], vcc
	s_cbranch_execz .LBB0_199
; %bb.198:
	.loc	1 108 23 is_stmt 1              ; attention_aot.py:108:23 @[ attention_aot.py:287:12 ]
	v_lshl_add_u64 v[24:25], s[20:21], 1, v[28:29]
	.loc	1 54 22                         ; attention_aot.py:54:22 @[ attention_aot.py:287:12 ]
	global_load_ushort v54, v[24:25], off
.LBB0_199:
	.loc	1 0 22 is_stmt 0                ; attention_aot.py:0:22
	s_or_b64 exec, exec, s[0:1]
	.loc	1 54 22                         ; attention_aot.py:54:22 @[ attention_aot.py:287:12 ]
	s_and_saveexec_b64 s[0:1], vcc
	s_cbranch_execz .LBB0_201
; %bb.200:
	.loc	1 108 23 is_stmt 1              ; attention_aot.py:108:23 @[ attention_aot.py:287:12 ]
	v_lshl_add_u64 v[24:25], s[20:21], 1, v[38:39]
	.loc	1 54 22                         ; attention_aot.py:54:22 @[ attention_aot.py:287:12 ]
	global_load_ushort v53, v[24:25], off
.LBB0_201:
	.loc	1 0 22 is_stmt 0                ; attention_aot.py:0:22
	s_or_b64 exec, exec, s[0:1]
	v_mov_b32_e32 v55, 0
	v_mov_b32_e32 v56, 0
	.loc	1 54 22                         ; attention_aot.py:54:22 @[ attention_aot.py:287:12 ]
	s_and_saveexec_b64 s[0:1], vcc
	s_cbranch_execz .LBB0_203
; %bb.202:
	.loc	1 108 23 is_stmt 1              ; attention_aot.py:108:23 @[ attention_aot.py:287:12 ]
	v_lshl_add_u64 v[24:25], s[20:21], 1, v[30:31]
	.loc	1 54 22                         ; attention_aot.py:54:22 @[ attention_aot.py:287:12 ]
	global_load_ushort v56, v[24:25], off
.LBB0_203:
	;; [unrolled: 24-line block ×3, first 2 shown]
	.loc	1 0 22 is_stmt 0                ; attention_aot.py:0:22
	s_or_b64 exec, exec, s[0:1]
	.loc	1 54 22                         ; attention_aot.py:54:22 @[ attention_aot.py:287:12 ]
	s_and_saveexec_b64 s[0:1], vcc
	s_cbranch_execz .LBB0_209
; %bb.208:
	.loc	1 108 23 is_stmt 1              ; attention_aot.py:108:23 @[ attention_aot.py:287:12 ]
	v_lshl_add_u64 v[24:25], s[20:21], 1, v[42:43]
	.loc	1 54 22                         ; attention_aot.py:54:22 @[ attention_aot.py:287:12 ]
	global_load_ushort v58, v[24:25], off
.LBB0_209:
	.loc	1 0 22 is_stmt 0                ; attention_aot.py:0:22
	s_or_b64 exec, exec, s[0:1]
	.loc	1 54 22                         ; attention_aot.py:54:22 @[ attention_aot.py:287:12 ]
	s_waitcnt lgkmcnt(0)
	s_barrier
	ds_read_b64_tr_b16 v[162:163], v86 offset:16384
	ds_read_b64_tr_b16 v[100:101], v86 offset:18432
	;; [unrolled: 1-line block ×16, first 2 shown]
	s_ashr_i32 s19, s18, 31
	.loc	1 51 34 is_stmt 1               ; attention_aot.py:51:34 @[ attention_aot.py:287:12 ]
	s_or_b32 s0, s2, s67
	.loc	1 51 44 is_stmt 0               ; attention_aot.py:51:44 @[ attention_aot.py:287:12 ]
	s_cmp_ge_i32 s0, s66
	.loc	1 56 28 is_stmt 1               ; attention_aot.py:56:28 @[ attention_aot.py:287:12 ]
	s_cbranch_scc1 .LBB0_218
; %bb.210:
	.loc	1 109 23                        ; attention_aot.py:109:23 @[ attention_aot.py:287:12 ]
	v_lshl_add_u64 v[16:17], s[18:19], 1, v[16:17]
	.loc	1 56 28                         ; attention_aot.py:56:28 @[ attention_aot.py:287:12 ]
	global_load_ushort v62, v[16:17], off
	.loc	1 51 34                         ; attention_aot.py:51:34 @[ attention_aot.py:287:12 ]
	s_or_b32 s0, s2, s68
	.loc	1 51 44 is_stmt 0               ; attention_aot.py:51:44 @[ attention_aot.py:287:12 ]
	s_cmp_ge_i32 s0, s66
	.loc	1 56 28 is_stmt 1               ; attention_aot.py:56:28 @[ attention_aot.py:287:12 ]
	s_cbranch_scc0 .LBB0_219
.LBB0_211:
	.loc	1 0 28 is_stmt 0                ; attention_aot.py:0:28
	v_mov_b32_e32 v63, 0
	.loc	1 51 34 is_stmt 1               ; attention_aot.py:51:34 @[ attention_aot.py:287:12 ]
	s_or_b32 s0, s2, s69
	.loc	1 51 44 is_stmt 0               ; attention_aot.py:51:44 @[ attention_aot.py:287:12 ]
	s_cmp_ge_i32 s0, s66
	.loc	1 56 28 is_stmt 1               ; attention_aot.py:56:28 @[ attention_aot.py:287:12 ]
	s_cbranch_scc0 .LBB0_220
.LBB0_212:
	.loc	1 0 28 is_stmt 0                ; attention_aot.py:0:28
	v_mov_b32_e32 v64, 0
	.loc	1 51 34 is_stmt 1               ; attention_aot.py:51:34 @[ attention_aot.py:287:12 ]
	s_or_b32 s0, s2, s70
	.loc	1 51 44 is_stmt 0               ; attention_aot.py:51:44 @[ attention_aot.py:287:12 ]
	s_cmp_ge_i32 s0, s66
	.loc	1 56 28 is_stmt 1               ; attention_aot.py:56:28 @[ attention_aot.py:287:12 ]
	s_cbranch_scc0 .LBB0_221
.LBB0_213:
	.loc	1 0 28 is_stmt 0                ; attention_aot.py:0:28
	v_mov_b32_e32 v65, 0
	.loc	1 51 34 is_stmt 1               ; attention_aot.py:51:34 @[ attention_aot.py:287:12 ]
	s_or_b32 s0, s2, s71
	.loc	1 51 44 is_stmt 0               ; attention_aot.py:51:44 @[ attention_aot.py:287:12 ]
	s_cmp_ge_i32 s0, s66
	.loc	1 56 28 is_stmt 1               ; attention_aot.py:56:28 @[ attention_aot.py:287:12 ]
	s_cbranch_scc0 .LBB0_222
.LBB0_214:
	.loc	1 0 28 is_stmt 0                ; attention_aot.py:0:28
	v_mov_b32_e32 v66, 0
	.loc	1 51 34 is_stmt 1               ; attention_aot.py:51:34 @[ attention_aot.py:287:12 ]
	s_or_b32 s0, s2, s72
	.loc	1 51 44 is_stmt 0               ; attention_aot.py:51:44 @[ attention_aot.py:287:12 ]
	s_cmp_ge_i32 s0, s66
	.loc	1 56 28 is_stmt 1               ; attention_aot.py:56:28 @[ attention_aot.py:287:12 ]
	s_cbranch_scc0 .LBB0_223
.LBB0_215:
	.loc	1 0 28 is_stmt 0                ; attention_aot.py:0:28
	v_mov_b32_e32 v67, 0
	.loc	1 51 34 is_stmt 1               ; attention_aot.py:51:34 @[ attention_aot.py:287:12 ]
	s_or_b32 s0, s2, s73
	.loc	1 51 44 is_stmt 0               ; attention_aot.py:51:44 @[ attention_aot.py:287:12 ]
	s_cmp_ge_i32 s0, s66
	.loc	1 56 28 is_stmt 1               ; attention_aot.py:56:28 @[ attention_aot.py:287:12 ]
	s_cbranch_scc0 .LBB0_224
.LBB0_216:
	.loc	1 0 28 is_stmt 0                ; attention_aot.py:0:28
	v_mov_b32_e32 v68, 0
	.loc	1 51 34 is_stmt 1               ; attention_aot.py:51:34 @[ attention_aot.py:287:12 ]
	s_or_b32 s0, s2, s74
	.loc	1 51 44 is_stmt 0               ; attention_aot.py:51:44 @[ attention_aot.py:287:12 ]
	s_cmp_ge_i32 s0, s66
	.loc	1 56 28 is_stmt 1               ; attention_aot.py:56:28 @[ attention_aot.py:287:12 ]
	s_cbranch_scc0 .LBB0_225
.LBB0_217:
	.loc	1 0 28 is_stmt 0                ; attention_aot.py:0:28
	v_mov_b32_e32 v69, 0
	.loc	1 56 28                         ; attention_aot.py:56:28 @[ attention_aot.py:287:12 ]
	s_branch .LBB0_226
.LBB0_218:
	.loc	1 0 28                          ; attention_aot.py:0:28
	v_mov_b32_e32 v62, 0
	.loc	1 51 34 is_stmt 1               ; attention_aot.py:51:34 @[ attention_aot.py:287:12 ]
	s_or_b32 s0, s2, s68
	.loc	1 51 44 is_stmt 0               ; attention_aot.py:51:44 @[ attention_aot.py:287:12 ]
	s_cmp_ge_i32 s0, s66
	.loc	1 56 28 is_stmt 1               ; attention_aot.py:56:28 @[ attention_aot.py:287:12 ]
	s_cbranch_scc1 .LBB0_211
.LBB0_219:
	.loc	1 109 23                        ; attention_aot.py:109:23 @[ attention_aot.py:287:12 ]
	v_lshl_add_u64 v[16:17], s[18:19], 1, v[18:19]
	.loc	1 56 28                         ; attention_aot.py:56:28 @[ attention_aot.py:287:12 ]
	global_load_ushort v63, v[16:17], off
	.loc	1 51 34                         ; attention_aot.py:51:34 @[ attention_aot.py:287:12 ]
	s_or_b32 s0, s2, s69
	.loc	1 51 44 is_stmt 0               ; attention_aot.py:51:44 @[ attention_aot.py:287:12 ]
	s_cmp_ge_i32 s0, s66
	.loc	1 56 28 is_stmt 1               ; attention_aot.py:56:28 @[ attention_aot.py:287:12 ]
	s_cbranch_scc1 .LBB0_212
.LBB0_220:
	.loc	1 109 23                        ; attention_aot.py:109:23 @[ attention_aot.py:287:12 ]
	v_lshl_add_u64 v[16:17], s[18:19], 1, v[20:21]
	.loc	1 56 28                         ; attention_aot.py:56:28 @[ attention_aot.py:287:12 ]
	global_load_ushort v64, v[16:17], off
	.loc	1 51 34                         ; attention_aot.py:51:34 @[ attention_aot.py:287:12 ]
	s_or_b32 s0, s2, s70
	.loc	1 51 44 is_stmt 0               ; attention_aot.py:51:44 @[ attention_aot.py:287:12 ]
	s_cmp_ge_i32 s0, s66
	.loc	1 56 28 is_stmt 1               ; attention_aot.py:56:28 @[ attention_aot.py:287:12 ]
	s_cbranch_scc1 .LBB0_213
.LBB0_221:
	.loc	1 109 23                        ; attention_aot.py:109:23 @[ attention_aot.py:287:12 ]
	v_lshl_add_u64 v[16:17], s[18:19], 1, v[22:23]
	.loc	1 56 28                         ; attention_aot.py:56:28 @[ attention_aot.py:287:12 ]
	global_load_ushort v65, v[16:17], off
	.loc	1 51 34                         ; attention_aot.py:51:34 @[ attention_aot.py:287:12 ]
	s_or_b32 s0, s2, s71
	.loc	1 51 44 is_stmt 0               ; attention_aot.py:51:44 @[ attention_aot.py:287:12 ]
	s_cmp_ge_i32 s0, s66
	.loc	1 56 28 is_stmt 1               ; attention_aot.py:56:28 @[ attention_aot.py:287:12 ]
	s_cbranch_scc1 .LBB0_214
.LBB0_222:
	.loc	1 109 23                        ; attention_aot.py:109:23 @[ attention_aot.py:287:12 ]
	v_lshl_add_u64 v[16:17], s[18:19], 1, v[26:27]
	.loc	1 56 28                         ; attention_aot.py:56:28 @[ attention_aot.py:287:12 ]
	global_load_ushort v66, v[16:17], off
	.loc	1 51 34                         ; attention_aot.py:51:34 @[ attention_aot.py:287:12 ]
	s_or_b32 s0, s2, s72
	.loc	1 51 44 is_stmt 0               ; attention_aot.py:51:44 @[ attention_aot.py:287:12 ]
	s_cmp_ge_i32 s0, s66
	.loc	1 56 28 is_stmt 1               ; attention_aot.py:56:28 @[ attention_aot.py:287:12 ]
	s_cbranch_scc1 .LBB0_215
.LBB0_223:
	.loc	1 109 23                        ; attention_aot.py:109:23 @[ attention_aot.py:287:12 ]
	v_lshl_add_u64 v[16:17], s[18:19], 1, v[34:35]
	.loc	1 56 28                         ; attention_aot.py:56:28 @[ attention_aot.py:287:12 ]
	global_load_ushort v67, v[16:17], off
	.loc	1 51 34                         ; attention_aot.py:51:34 @[ attention_aot.py:287:12 ]
	s_or_b32 s0, s2, s73
	.loc	1 51 44 is_stmt 0               ; attention_aot.py:51:44 @[ attention_aot.py:287:12 ]
	s_cmp_ge_i32 s0, s66
	.loc	1 56 28 is_stmt 1               ; attention_aot.py:56:28 @[ attention_aot.py:287:12 ]
	s_cbranch_scc1 .LBB0_216
.LBB0_224:
	.loc	1 109 23                        ; attention_aot.py:109:23 @[ attention_aot.py:287:12 ]
	v_lshl_add_u64 v[16:17], s[18:19], 1, v[44:45]
	.loc	1 56 28                         ; attention_aot.py:56:28 @[ attention_aot.py:287:12 ]
	global_load_ushort v68, v[16:17], off
	.loc	1 51 34                         ; attention_aot.py:51:34 @[ attention_aot.py:287:12 ]
	s_or_b32 s0, s2, s74
	.loc	1 51 44 is_stmt 0               ; attention_aot.py:51:44 @[ attention_aot.py:287:12 ]
	s_cmp_ge_i32 s0, s66
	.loc	1 56 28 is_stmt 1               ; attention_aot.py:56:28 @[ attention_aot.py:287:12 ]
	s_cbranch_scc1 .LBB0_217
.LBB0_225:
	.loc	1 109 23                        ; attention_aot.py:109:23 @[ attention_aot.py:287:12 ]
	v_lshl_add_u64 v[16:17], s[18:19], 1, v[46:47]
	.loc	1 56 28                         ; attention_aot.py:56:28 @[ attention_aot.py:287:12 ]
	global_load_ushort v69, v[16:17], off
.LBB0_226:
	.loc	1 58 27                         ; attention_aot.py:58:27 @[ attention_aot.py:287:12 ]
	s_waitcnt lgkmcnt(11)
	v_mfma_f32_32x32x16_f16 v[32:47], v[162:165], v[214:217], 0
	.loc	1 51 34                         ; attention_aot.py:51:34 @[ attention_aot.py:287:12 ]
	v_or_b32_e32 v57, s16, v114
.Ltmp288:
	.loc	1 178 46                        ; attention_aot.py:178:46
	s_lshr_b32 s0, s75, 1
.Ltmp289:
	.loc	1 51 34                         ; attention_aot.py:51:34 @[ attention_aot.py:287:12 ]
	v_or_b32_e32 v61, s16, v142
.Ltmp290:
	.loc	1 178 46                        ; attention_aot.py:178:46
	v_and_b32_e32 v49, 0x7f, v151
	.loc	1 178 33 is_stmt 0              ; attention_aot.py:178:33
	v_or_b32_e32 v151, s0, v113
.Ltmp291:
	.loc	1 60 49 is_stmt 1               ; attention_aot.py:60:49 @[ attention_aot.py:287:12 ]
	v_mov_b32_e32 v60, 0xff800000
	.loc	1 51 44                         ; attention_aot.py:51:44 @[ attention_aot.py:287:12 ]
	v_cmp_gt_i32_e64 s[0:1], s66, v57
	.loc	1 58 27                         ; attention_aot.py:58:27 @[ attention_aot.py:287:12 ]
	s_waitcnt lgkmcnt(10)
	v_mfma_f32_32x32x16_f16 v[32:47], v[100:103], v[210:213], v[32:47]
	.loc	1 51 34                         ; attention_aot.py:51:34 @[ attention_aot.py:287:12 ]
	v_or_b32_e32 v110, s16, v143
	v_or_b32_e32 v111, s16, v144
	v_or_b32_e32 v150, s16, v145
	v_or_b32_e32 v152, s16, v135
	v_or_b32_e32 v153, s16, v136
	v_or_b32_e32 v154, s16, v137
	v_or_b32_e32 v156, s16, v138
	.loc	1 58 27                         ; attention_aot.py:58:27 @[ attention_aot.py:287:12 ]
	s_waitcnt lgkmcnt(9)
	v_mfma_f32_32x32x16_f16 v[32:47], v[76:79], v[206:209], v[32:47]
	.loc	1 51 34                         ; attention_aot.py:51:34 @[ attention_aot.py:287:12 ]
	v_or_b32_e32 v174, s16, v139
	v_or_b32_e32 v175, s16, v140
	v_or_b32_e32 v176, s16, v141
	v_or_b32_e32 v177, s16, v130
	v_or_b32_e32 v178, s16, v131
	v_or_b32_e32 v179, s16, v132
	v_or_b32_e32 v180, s16, v133
	;; [unrolled: 11-line block ×3, first 2 shown]
	.loc	1 58 27                         ; attention_aot.py:58:27 @[ attention_aot.py:287:12 ]
	s_waitcnt lgkmcnt(3)
	v_mfma_f32_32x32x16_f16 v[16:31], v[170:173], v[214:217], 0
	.loc	1 60 49                         ; attention_aot.py:60:49 @[ attention_aot.py:287:12 ]
	s_nop 2
	v_cndmask_b32_e64 v32, v60, v32, s[0:1]
	.loc	1 51 44                         ; attention_aot.py:51:44 @[ attention_aot.py:287:12 ]
	v_cmp_gt_i32_e64 s[0:1], s66, v61
	.loc	1 51 34 is_stmt 0               ; attention_aot.py:51:34 @[ attention_aot.py:287:12 ]
	v_or_b32_e32 v188, s16, v127
	v_or_b32_e32 v189, s16, v128
	.loc	1 60 49 is_stmt 1               ; attention_aot.py:60:49 @[ attention_aot.py:287:12 ]
	v_cndmask_b32_e64 v33, v60, v33, s[0:1]
	.loc	1 51 44                         ; attention_aot.py:51:44 @[ attention_aot.py:287:12 ]
	v_cmp_gt_i32_e64 s[0:1], s66, v110
	.loc	1 51 34 is_stmt 0               ; attention_aot.py:51:34 @[ attention_aot.py:287:12 ]
	v_or_b32_e32 v190, s16, v115
	.loc	1 58 27 is_stmt 1               ; attention_aot.py:58:27 @[ attention_aot.py:287:12 ]
	s_waitcnt lgkmcnt(2)
	v_mfma_f32_32x32x16_f16 v[16:31], v[166:169], v[210:213], v[16:31]
	.loc	1 60 49                         ; attention_aot.py:60:49 @[ attention_aot.py:287:12 ]
	v_cndmask_b32_e64 v34, v60, v34, s[0:1]
	.loc	1 51 44                         ; attention_aot.py:51:44 @[ attention_aot.py:287:12 ]
	v_cmp_gt_i32_e64 s[0:1], s66, v111
	.loc	1 51 34 is_stmt 0               ; attention_aot.py:51:34 @[ attention_aot.py:287:12 ]
	v_or_b32_e32 v191, s16, v116
	v_or_b32_e32 v192, s16, v117
	.loc	1 60 49 is_stmt 1               ; attention_aot.py:60:49 @[ attention_aot.py:287:12 ]
	v_cndmask_b32_e64 v35, v60, v35, s[0:1]
	.loc	1 51 44                         ; attention_aot.py:51:44 @[ attention_aot.py:287:12 ]
	v_cmp_gt_i32_e64 s[0:1], s66, v150
	.loc	1 51 34 is_stmt 0               ; attention_aot.py:51:34 @[ attention_aot.py:287:12 ]
	v_or_b32_e32 v193, s16, v118
	.loc	1 58 27 is_stmt 1               ; attention_aot.py:58:27 @[ attention_aot.py:287:12 ]
	s_waitcnt lgkmcnt(1)
	v_mfma_f32_32x32x16_f16 v[16:31], v[158:161], v[206:209], v[16:31]
	.loc	1 60 49                         ; attention_aot.py:60:49 @[ attention_aot.py:287:12 ]
	;; [unrolled: 16-line block ×3, first 2 shown]
	v_cndmask_b32_e64 v38, v60, v38, s[0:1]
	.loc	1 51 44                         ; attention_aot.py:51:44 @[ attention_aot.py:287:12 ]
	v_cmp_gt_i32_e64 s[0:1], s66, v154
	.loc	1 78 63                         ; attention_aot.py:78:63 @[ attention_aot.py:287:12 ]
	v_mov_b32_e32 v61, 0xc9742400
	.loc	1 78 26 is_stmt 0               ; attention_aot.py:78:26 @[ attention_aot.py:287:12 ]
	v_mul_f32_e32 v32, s10, v32
	.loc	1 60 49 is_stmt 1               ; attention_aot.py:60:49 @[ attention_aot.py:287:12 ]
	v_cndmask_b32_e64 v39, v60, v39, s[0:1]
	.loc	1 51 44                         ; attention_aot.py:51:44 @[ attention_aot.py:287:12 ]
	v_cmp_gt_i32_e64 s[0:1], s66, v156
	.loc	1 78 26                         ; attention_aot.py:78:26 @[ attention_aot.py:287:12 ]
	v_mul_f32_e32 v33, s10, v33
	v_mul_f32_e32 v34, s10, v34
	.loc	1 60 49                         ; attention_aot.py:60:49 @[ attention_aot.py:287:12 ]
	v_cndmask_b32_e64 v40, v60, v40, s[0:1]
	.loc	1 51 44                         ; attention_aot.py:51:44 @[ attention_aot.py:287:12 ]
	v_cmp_gt_i32_e64 s[0:1], s66, v174
	.loc	1 78 26                         ; attention_aot.py:78:26 @[ attention_aot.py:287:12 ]
	v_mul_f32_e32 v35, s10, v35
	v_mul_f32_e32 v36, s10, v36
	.loc	1 60 49                         ; attention_aot.py:60:49 @[ attention_aot.py:287:12 ]
	;; [unrolled: 7-line block ×6, first 2 shown]
	v_cndmask_b32_e64 v45, v60, v45, s[0:1]
	.loc	1 51 44                         ; attention_aot.py:51:44 @[ attention_aot.py:287:12 ]
	v_cmp_gt_i32_e64 s[0:1], s66, v179
	.loc	1 78 26                         ; attention_aot.py:78:26 @[ attention_aot.py:287:12 ]
	v_mul_f32_e32 v45, s10, v45
.Ltmp292:
	.loc	1 178 33                        ; attention_aot.py:178:33
	v_or_b32_e32 v50, s16, v151
.Ltmp293:
	.loc	1 60 49                         ; attention_aot.py:60:49 @[ attention_aot.py:287:12 ]
	v_cndmask_b32_e64 v46, v60, v46, s[0:1]
	.loc	1 51 44                         ; attention_aot.py:51:44 @[ attention_aot.py:287:12 ]
	v_cmp_gt_i32_e64 s[0:1], s66, v180
	.loc	1 78 26                         ; attention_aot.py:78:26 @[ attention_aot.py:287:12 ]
	v_mul_f32_e32 v46, s10, v46
	.loc	1 56 28                         ; attention_aot.py:56:28 @[ attention_aot.py:287:12 ]
	ds_read_b64_tr_b16 v[98:99], v82 offset:24576
	ds_read_b64_tr_b16 v[74:75], v82 offset:26624
	;; [unrolled: 1-line block ×3, first 2 shown]
	.loc	1 60 49                         ; attention_aot.py:60:49 @[ attention_aot.py:287:12 ]
	v_cndmask_b32_e64 v47, v60, v47, s[0:1]
	.loc	1 51 44                         ; attention_aot.py:51:44 @[ attention_aot.py:287:12 ]
	v_cmp_gt_i32_e64 s[0:1], s66, v181
	.loc	1 78 26                         ; attention_aot.py:78:26 @[ attention_aot.py:287:12 ]
	v_mul_f32_e32 v47, s10, v47
	.loc	1 56 28                         ; attention_aot.py:56:28 @[ attention_aot.py:287:12 ]
	ds_read_b64_tr_b16 v[102:103], v82 offset:30720
	ds_read_b64_tr_b16 v[100:101], v83 offset:24576
	;; [unrolled: 1-line block ×5, first 2 shown]
	.loc	1 60 49                         ; attention_aot.py:60:49 @[ attention_aot.py:287:12 ]
	v_cndmask_b32_e64 v16, v60, v16, s[0:1]
	.loc	1 51 44                         ; attention_aot.py:51:44 @[ attention_aot.py:287:12 ]
	v_cmp_gt_i32_e64 s[0:1], s66, v182
	.loc	1 78 26                         ; attention_aot.py:78:26 @[ attention_aot.py:287:12 ]
	v_mul_f32_e32 v16, s10, v16
.Ltmp294:
	.loc	1 178 33                        ; attention_aot.py:178:33
	v_or_b32_e32 v48, s16, v49
.Ltmp295:
	.loc	1 60 49                         ; attention_aot.py:60:49 @[ attention_aot.py:287:12 ]
	v_cndmask_b32_e64 v17, v60, v17, s[0:1]
	.loc	1 51 44                         ; attention_aot.py:51:44 @[ attention_aot.py:287:12 ]
	v_cmp_gt_i32_e64 s[0:1], s66, v183
	.loc	1 78 26                         ; attention_aot.py:78:26 @[ attention_aot.py:287:12 ]
	v_mul_f32_e32 v17, s10, v17
.Ltmp296:
	.loc	1 179 27                        ; attention_aot.py:179:27
	v_cmp_gt_i32_e32 vcc, s9, v48
.Ltmp297:
	.loc	1 60 49                         ; attention_aot.py:60:49 @[ attention_aot.py:287:12 ]
	v_cndmask_b32_e64 v18, v60, v18, s[0:1]
	.loc	1 51 44                         ; attention_aot.py:51:44 @[ attention_aot.py:287:12 ]
	v_cmp_gt_i32_e64 s[0:1], s66, v184
	.loc	1 78 26                         ; attention_aot.py:78:26 @[ attention_aot.py:287:12 ]
	v_mul_f32_e32 v18, s10, v18
	.loc	1 60 49                         ; attention_aot.py:60:49 @[ attention_aot.py:287:12 ]
	s_nop 0
	v_cndmask_b32_e64 v19, v60, v19, s[0:1]
	.loc	1 51 44                         ; attention_aot.py:51:44 @[ attention_aot.py:287:12 ]
	v_cmp_gt_i32_e64 s[0:1], s66, v185
	.loc	1 78 26                         ; attention_aot.py:78:26 @[ attention_aot.py:287:12 ]
	v_mul_f32_e32 v19, s10, v19
	.loc	1 60 49                         ; attention_aot.py:60:49 @[ attention_aot.py:287:12 ]
	s_nop 0
	;; [unrolled: 7-line block ×13, first 2 shown]
	v_cndmask_b32_e64 v31, v60, v31, s[0:1]
	.loc	1 71 39                         ; attention_aot.py:71:39 @[ attention_aot.py:287:12 ]
	v_cmp_lt_u32_e64 s[0:1], v151, v114
	.loc	1 78 26                         ; attention_aot.py:78:26 @[ attention_aot.py:287:12 ]
	v_mul_f32_e32 v31, s10, v31
	.loc	1 78 63 is_stmt 0               ; attention_aot.py:78:63 @[ attention_aot.py:287:12 ]
	s_nop 0
	v_cndmask_b32_e64 v78, 0, v61, s[0:1]
	.loc	1 71 39 is_stmt 1               ; attention_aot.py:71:39 @[ attention_aot.py:287:12 ]
	v_cmp_gt_u32_e64 s[0:1], v151, v114
	.loc	1 78 45                         ; attention_aot.py:78:45 @[ attention_aot.py:287:12 ]
	v_fmac_f32_e32 v78, 0x3fb8aa3b, v32
	.loc	1 78 63 is_stmt 0               ; attention_aot.py:78:63 @[ attention_aot.py:287:12 ]
	s_nop 0
	v_cndmask_b32_e64 v79, v61, 0, s[0:1]
	.loc	1 71 39 is_stmt 1               ; attention_aot.py:71:39 @[ attention_aot.py:287:12 ]
	v_cmp_lt_u32_e64 s[0:1], v151, v143
	.loc	1 78 45                         ; attention_aot.py:78:45 @[ attention_aot.py:287:12 ]
	v_fmac_f32_e32 v79, 0x3fb8aa3b, v33
	.loc	1 78 63 is_stmt 0               ; attention_aot.py:78:63 @[ attention_aot.py:287:12 ]
	s_nop 0
	v_cndmask_b32_e64 v106, 0, v61, s[0:1]
	.loc	1 71 39 is_stmt 1               ; attention_aot.py:71:39 @[ attention_aot.py:287:12 ]
	v_cmp_lt_u32_e64 s[0:1], v151, v144
	.loc	1 78 45                         ; attention_aot.py:78:45 @[ attention_aot.py:287:12 ]
	v_fmac_f32_e32 v106, 0x3fb8aa3b, v34
	.loc	1 78 63 is_stmt 0               ; attention_aot.py:78:63 @[ attention_aot.py:287:12 ]
	s_nop 0
	v_cndmask_b32_e64 v107, 0, v61, s[0:1]
	.loc	1 71 39 is_stmt 1               ; attention_aot.py:71:39 @[ attention_aot.py:287:12 ]
	v_cmp_lt_u32_e64 s[0:1], v151, v145
	.loc	1 78 45                         ; attention_aot.py:78:45 @[ attention_aot.py:287:12 ]
	v_fmac_f32_e32 v107, 0x3fb8aa3b, v35
	.loc	1 78 63 is_stmt 0               ; attention_aot.py:78:63 @[ attention_aot.py:287:12 ]
	s_nop 0
	v_cndmask_b32_e64 v108, 0, v61, s[0:1]
	.loc	1 71 39 is_stmt 1               ; attention_aot.py:71:39 @[ attention_aot.py:287:12 ]
	v_cmp_lt_u32_e64 s[0:1], v151, v135
	.loc	1 78 45                         ; attention_aot.py:78:45 @[ attention_aot.py:287:12 ]
	v_fmac_f32_e32 v108, 0x3fb8aa3b, v36
	.loc	1 78 63 is_stmt 0               ; attention_aot.py:78:63 @[ attention_aot.py:287:12 ]
	s_nop 0
	v_cndmask_b32_e64 v109, 0, v61, s[0:1]
	.loc	1 71 39 is_stmt 1               ; attention_aot.py:71:39 @[ attention_aot.py:287:12 ]
	v_cmp_lt_u32_e64 s[0:1], v151, v136
	.loc	1 78 45                         ; attention_aot.py:78:45 @[ attention_aot.py:287:12 ]
	v_fmac_f32_e32 v109, 0x3fb8aa3b, v37
	.loc	1 78 63 is_stmt 0               ; attention_aot.py:78:63 @[ attention_aot.py:287:12 ]
	s_nop 0
	v_cndmask_b32_e64 v110, 0, v61, s[0:1]
	.loc	1 71 39 is_stmt 1               ; attention_aot.py:71:39 @[ attention_aot.py:287:12 ]
	v_cmp_lt_u32_e64 s[0:1], v151, v137
	.loc	1 78 45                         ; attention_aot.py:78:45 @[ attention_aot.py:287:12 ]
	v_fmac_f32_e32 v110, 0x3fb8aa3b, v38
	.loc	1 78 63 is_stmt 0               ; attention_aot.py:78:63 @[ attention_aot.py:287:12 ]
	s_nop 0
	v_cndmask_b32_e64 v111, 0, v61, s[0:1]
	.loc	1 71 39 is_stmt 1               ; attention_aot.py:71:39 @[ attention_aot.py:287:12 ]
	v_cmp_lt_u32_e64 s[0:1], v151, v138
	.loc	1 78 45                         ; attention_aot.py:78:45 @[ attention_aot.py:287:12 ]
	v_fmac_f32_e32 v111, 0x3fb8aa3b, v39
	.loc	1 78 63 is_stmt 0               ; attention_aot.py:78:63 @[ attention_aot.py:287:12 ]
	s_nop 0
	v_cndmask_b32_e64 v150, 0, v61, s[0:1]
	.loc	1 71 39 is_stmt 1               ; attention_aot.py:71:39 @[ attention_aot.py:287:12 ]
	v_cmp_lt_u32_e64 s[0:1], v151, v139
	.loc	1 78 45                         ; attention_aot.py:78:45 @[ attention_aot.py:287:12 ]
	v_fmac_f32_e32 v150, 0x3fb8aa3b, v40
	.loc	1 78 63 is_stmt 0               ; attention_aot.py:78:63 @[ attention_aot.py:287:12 ]
	s_nop 0
	v_cndmask_b32_e64 v152, 0, v61, s[0:1]
	.loc	1 71 39 is_stmt 1               ; attention_aot.py:71:39 @[ attention_aot.py:287:12 ]
	v_cmp_lt_u32_e64 s[0:1], v151, v140
	.loc	1 78 45                         ; attention_aot.py:78:45 @[ attention_aot.py:287:12 ]
	v_fmac_f32_e32 v152, 0x3fb8aa3b, v41
	.loc	1 78 63 is_stmt 0               ; attention_aot.py:78:63 @[ attention_aot.py:287:12 ]
	s_nop 0
	v_cndmask_b32_e64 v153, 0, v61, s[0:1]
	.loc	1 71 39 is_stmt 1               ; attention_aot.py:71:39 @[ attention_aot.py:287:12 ]
	v_cmp_lt_u32_e64 s[0:1], v151, v141
	.loc	1 78 45                         ; attention_aot.py:78:45 @[ attention_aot.py:287:12 ]
	v_fmac_f32_e32 v153, 0x3fb8aa3b, v42
	.loc	1 78 63 is_stmt 0               ; attention_aot.py:78:63 @[ attention_aot.py:287:12 ]
	s_nop 0
	v_cndmask_b32_e64 v154, 0, v61, s[0:1]
	.loc	1 71 39 is_stmt 1               ; attention_aot.py:71:39 @[ attention_aot.py:287:12 ]
	v_cmp_lt_u32_e64 s[0:1], v151, v130
	.loc	1 78 45                         ; attention_aot.py:78:45 @[ attention_aot.py:287:12 ]
	v_fmac_f32_e32 v154, 0x3fb8aa3b, v43
	.loc	1 78 63 is_stmt 0               ; attention_aot.py:78:63 @[ attention_aot.py:287:12 ]
	s_nop 0
	v_cndmask_b32_e64 v156, 0, v61, s[0:1]
	.loc	1 71 39 is_stmt 1               ; attention_aot.py:71:39 @[ attention_aot.py:287:12 ]
	v_cmp_lt_u32_e64 s[0:1], v151, v131
	.loc	1 78 45                         ; attention_aot.py:78:45 @[ attention_aot.py:287:12 ]
	v_fmac_f32_e32 v156, 0x3fb8aa3b, v44
	.loc	1 78 63 is_stmt 0               ; attention_aot.py:78:63 @[ attention_aot.py:287:12 ]
	s_nop 0
	v_cndmask_b32_e64 v158, 0, v61, s[0:1]
	.loc	1 71 39 is_stmt 1               ; attention_aot.py:71:39 @[ attention_aot.py:287:12 ]
	v_cmp_lt_u32_e64 s[0:1], v151, v132
	.loc	1 78 45                         ; attention_aot.py:78:45 @[ attention_aot.py:287:12 ]
	v_fmac_f32_e32 v158, 0x3fb8aa3b, v45
	.loc	1 78 63 is_stmt 0               ; attention_aot.py:78:63 @[ attention_aot.py:287:12 ]
	s_nop 0
	v_cndmask_b32_e64 v159, 0, v61, s[0:1]
	.loc	1 71 39 is_stmt 1               ; attention_aot.py:71:39 @[ attention_aot.py:287:12 ]
	v_cmp_lt_u32_e64 s[0:1], v151, v133
	.loc	1 78 45                         ; attention_aot.py:78:45 @[ attention_aot.py:287:12 ]
	v_fmac_f32_e32 v159, 0x3fb8aa3b, v46
	.loc	1 78 63 is_stmt 0               ; attention_aot.py:78:63 @[ attention_aot.py:287:12 ]
	s_nop 0
	v_cndmask_b32_e64 v160, 0, v61, s[0:1]
	.loc	1 71 39 is_stmt 1               ; attention_aot.py:71:39 @[ attention_aot.py:287:12 ]
	v_cmp_lt_u32_e64 s[0:1], v151, v134
	.loc	1 78 45                         ; attention_aot.py:78:45 @[ attention_aot.py:287:12 ]
	v_fmac_f32_e32 v160, 0x3fb8aa3b, v47
	.loc	1 78 63 is_stmt 0               ; attention_aot.py:78:63 @[ attention_aot.py:287:12 ]
	s_nop 0
	v_cndmask_b32_e64 v161, 0, v61, s[0:1]
	.loc	1 71 39 is_stmt 1               ; attention_aot.py:71:39 @[ attention_aot.py:287:12 ]
	v_cmp_lt_u32_e64 s[0:1], v151, v129
	.loc	1 78 45                         ; attention_aot.py:78:45 @[ attention_aot.py:287:12 ]
	v_fmac_f32_e32 v161, 0x3fb8aa3b, v16
.Ltmp298:
	.loc	2 170 27                        ; standard.py:170:27 @[ standard.py:191:40 @[ attention_aot.py:80:46 @[ attention_aot.py:287:12 ] ] ]
	v_max_f32_e32 v16, v78, v79
.Ltmp299:
	.loc	1 78 63                         ; attention_aot.py:78:63 @[ attention_aot.py:287:12 ]
	v_cndmask_b32_e64 v162, 0, v61, s[0:1]
	.loc	1 71 39                         ; attention_aot.py:71:39 @[ attention_aot.py:287:12 ]
	v_cmp_lt_u32_e64 s[0:1], v151, v122
.Ltmp300:
	.loc	2 170 27                        ; standard.py:170:27 @[ standard.py:191:40 @[ attention_aot.py:80:46 @[ attention_aot.py:287:12 ] ] ]
	v_max3_f32 v16, v16, v106, v107
	v_max3_f32 v16, v16, v108, v109
.Ltmp301:
	.loc	1 78 63                         ; attention_aot.py:78:63 @[ attention_aot.py:287:12 ]
	v_cndmask_b32_e64 v163, 0, v61, s[0:1]
	.loc	1 71 39                         ; attention_aot.py:71:39 @[ attention_aot.py:287:12 ]
	v_cmp_lt_u32_e64 s[0:1], v151, v123
.Ltmp302:
	.loc	2 170 27                        ; standard.py:170:27 @[ standard.py:191:40 @[ attention_aot.py:80:46 @[ attention_aot.py:287:12 ] ] ]
	v_max3_f32 v16, v16, v110, v111
	v_max3_f32 v16, v16, v150, v152
.Ltmp303:
	.loc	1 78 63                         ; attention_aot.py:78:63 @[ attention_aot.py:287:12 ]
	v_cndmask_b32_e64 v164, 0, v61, s[0:1]
	.loc	1 71 39                         ; attention_aot.py:71:39 @[ attention_aot.py:287:12 ]
	v_cmp_lt_u32_e64 s[0:1], v151, v124
.Ltmp304:
	.loc	2 170 27                        ; standard.py:170:27 @[ standard.py:191:40 @[ attention_aot.py:80:46 @[ attention_aot.py:287:12 ] ] ]
	v_max3_f32 v16, v16, v153, v154
	v_max3_f32 v16, v16, v156, v158
.Ltmp305:
	.loc	1 78 63                         ; attention_aot.py:78:63 @[ attention_aot.py:287:12 ]
	v_cndmask_b32_e64 v165, 0, v61, s[0:1]
	.loc	1 71 39                         ; attention_aot.py:71:39 @[ attention_aot.py:287:12 ]
	v_cmp_lt_u32_e64 s[0:1], v151, v125
	.loc	1 78 45                         ; attention_aot.py:78:45 @[ attention_aot.py:287:12 ]
	v_fmac_f32_e32 v162, 0x3fb8aa3b, v17
.Ltmp306:
	.loc	2 170 27                        ; standard.py:170:27 @[ standard.py:191:40 @[ attention_aot.py:80:46 @[ attention_aot.py:287:12 ] ] ]
	v_max3_f32 v16, v16, v159, v160
.Ltmp307:
	.loc	1 78 63                         ; attention_aot.py:78:63 @[ attention_aot.py:287:12 ]
	v_cndmask_b32_e64 v166, 0, v61, s[0:1]
	.loc	1 71 39                         ; attention_aot.py:71:39 @[ attention_aot.py:287:12 ]
	v_cmp_lt_u32_e64 s[0:1], v151, v126
	.loc	1 78 45                         ; attention_aot.py:78:45 @[ attention_aot.py:287:12 ]
	v_fmac_f32_e32 v163, 0x3fb8aa3b, v18
	v_fmac_f32_e32 v164, 0x3fb8aa3b, v19
	.loc	1 78 63 is_stmt 0               ; attention_aot.py:78:63 @[ attention_aot.py:287:12 ]
	v_cndmask_b32_e64 v167, 0, v61, s[0:1]
	.loc	1 71 39 is_stmt 1               ; attention_aot.py:71:39 @[ attention_aot.py:287:12 ]
	v_cmp_lt_u32_e64 s[0:1], v151, v127
.Ltmp308:
	.loc	2 170 27                        ; standard.py:170:27 @[ standard.py:191:40 @[ attention_aot.py:80:46 @[ attention_aot.py:287:12 ] ] ]
	v_max3_f32 v16, v16, v161, v162
.Ltmp309:
	.loc	1 78 45                         ; attention_aot.py:78:45 @[ attention_aot.py:287:12 ]
	v_fmac_f32_e32 v165, 0x3fb8aa3b, v20
	.loc	1 78 63 is_stmt 0               ; attention_aot.py:78:63 @[ attention_aot.py:287:12 ]
	v_cndmask_b32_e64 v168, 0, v61, s[0:1]
	.loc	1 71 39 is_stmt 1               ; attention_aot.py:71:39 @[ attention_aot.py:287:12 ]
	v_cmp_lt_u32_e64 s[0:1], v151, v128
	.loc	1 78 45                         ; attention_aot.py:78:45 @[ attention_aot.py:287:12 ]
	v_fmac_f32_e32 v166, 0x3fb8aa3b, v21
.Ltmp310:
	.loc	2 170 27                        ; standard.py:170:27 @[ standard.py:191:40 @[ attention_aot.py:80:46 @[ attention_aot.py:287:12 ] ] ]
	v_max3_f32 v16, v16, v163, v164
.Ltmp311:
	.loc	1 78 63                         ; attention_aot.py:78:63 @[ attention_aot.py:287:12 ]
	v_cndmask_b32_e64 v169, 0, v61, s[0:1]
	.loc	1 71 39                         ; attention_aot.py:71:39 @[ attention_aot.py:287:12 ]
	v_cmp_lt_u32_e64 s[0:1], v151, v115
	.loc	1 78 45                         ; attention_aot.py:78:45 @[ attention_aot.py:287:12 ]
	v_fmac_f32_e32 v167, 0x3fb8aa3b, v22
	v_fmac_f32_e32 v168, 0x3fb8aa3b, v23
	.loc	1 78 63 is_stmt 0               ; attention_aot.py:78:63 @[ attention_aot.py:287:12 ]
	v_cndmask_b32_e64 v170, 0, v61, s[0:1]
	.loc	1 71 39 is_stmt 1               ; attention_aot.py:71:39 @[ attention_aot.py:287:12 ]
	v_cmp_lt_u32_e64 s[0:1], v151, v116
.Ltmp312:
	.loc	2 170 27                        ; standard.py:170:27 @[ standard.py:191:40 @[ attention_aot.py:80:46 @[ attention_aot.py:287:12 ] ] ]
	v_max3_f32 v16, v16, v165, v166
.Ltmp313:
	.loc	1 78 45                         ; attention_aot.py:78:45 @[ attention_aot.py:287:12 ]
	v_fmac_f32_e32 v169, 0x3fb8aa3b, v24
	.loc	1 78 63 is_stmt 0               ; attention_aot.py:78:63 @[ attention_aot.py:287:12 ]
	v_cndmask_b32_e64 v171, 0, v61, s[0:1]
	.loc	1 71 39 is_stmt 1               ; attention_aot.py:71:39 @[ attention_aot.py:287:12 ]
	v_cmp_lt_u32_e64 s[0:1], v151, v117
	.loc	1 78 45                         ; attention_aot.py:78:45 @[ attention_aot.py:287:12 ]
	v_fmac_f32_e32 v170, 0x3fb8aa3b, v25
.Ltmp314:
	.loc	2 170 27                        ; standard.py:170:27 @[ standard.py:191:40 @[ attention_aot.py:80:46 @[ attention_aot.py:287:12 ] ] ]
	v_max3_f32 v16, v16, v167, v168
.Ltmp315:
	.loc	1 78 63                         ; attention_aot.py:78:63 @[ attention_aot.py:287:12 ]
	v_cndmask_b32_e64 v172, 0, v61, s[0:1]
	.loc	1 71 39                         ; attention_aot.py:71:39 @[ attention_aot.py:287:12 ]
	v_cmp_lt_u32_e64 s[0:1], v151, v118
	.loc	1 78 45                         ; attention_aot.py:78:45 @[ attention_aot.py:287:12 ]
	v_fmac_f32_e32 v171, 0x3fb8aa3b, v26
	v_fmac_f32_e32 v172, 0x3fb8aa3b, v27
	.loc	1 78 63 is_stmt 0               ; attention_aot.py:78:63 @[ attention_aot.py:287:12 ]
	v_cndmask_b32_e64 v173, 0, v61, s[0:1]
	.loc	1 71 39 is_stmt 1               ; attention_aot.py:71:39 @[ attention_aot.py:287:12 ]
	v_cmp_lt_u32_e64 s[0:1], v151, v119
.Ltmp316:
	.loc	2 170 27                        ; standard.py:170:27 @[ standard.py:191:40 @[ attention_aot.py:80:46 @[ attention_aot.py:287:12 ] ] ]
	v_max3_f32 v16, v16, v169, v170
.Ltmp317:
	.loc	1 78 45                         ; attention_aot.py:78:45 @[ attention_aot.py:287:12 ]
	v_fmac_f32_e32 v173, 0x3fb8aa3b, v28
	.loc	1 78 63 is_stmt 0               ; attention_aot.py:78:63 @[ attention_aot.py:287:12 ]
	v_cndmask_b32_e64 v174, 0, v61, s[0:1]
	.loc	1 71 39 is_stmt 1               ; attention_aot.py:71:39 @[ attention_aot.py:287:12 ]
	v_cmp_lt_u32_e64 s[0:1], v151, v120
	.loc	1 78 45                         ; attention_aot.py:78:45 @[ attention_aot.py:287:12 ]
	v_fmac_f32_e32 v174, 0x3fb8aa3b, v29
.Ltmp318:
	.loc	2 170 27                        ; standard.py:170:27 @[ standard.py:191:40 @[ attention_aot.py:80:46 @[ attention_aot.py:287:12 ] ] ]
	v_max3_f32 v16, v16, v171, v172
.Ltmp319:
	.loc	1 78 63                         ; attention_aot.py:78:63 @[ attention_aot.py:287:12 ]
	v_cndmask_b32_e64 v175, 0, v61, s[0:1]
	.loc	1 71 39                         ; attention_aot.py:71:39 @[ attention_aot.py:287:12 ]
	v_cmp_lt_u32_e64 s[0:1], v151, v121
	.loc	1 78 45                         ; attention_aot.py:78:45 @[ attention_aot.py:287:12 ]
	v_fmac_f32_e32 v175, 0x3fb8aa3b, v30
.Ltmp320:
	.loc	2 170 27                        ; standard.py:170:27 @[ standard.py:191:40 @[ attention_aot.py:80:46 @[ attention_aot.py:287:12 ] ] ]
	v_max3_f32 v16, v16, v173, v174
.Ltmp321:
	.loc	1 78 63                         ; attention_aot.py:78:63 @[ attention_aot.py:287:12 ]
	v_cndmask_b32_e64 v151, 0, v61, s[0:1]
	.loc	1 78 45 is_stmt 0               ; attention_aot.py:78:45 @[ attention_aot.py:287:12 ]
	v_fmac_f32_e32 v151, 0x3fb8aa3b, v31
.Ltmp322:
	.loc	2 170 27 is_stmt 1              ; standard.py:170:27 @[ standard.py:191:40 @[ attention_aot.py:80:46 @[ attention_aot.py:287:12 ] ] ]
	v_max3_f32 v16, v16, v175, v151
.Ltmp323:
	.loc	2 191 40                        ; standard.py:191:40 @[ attention_aot.py:80:46 @[ attention_aot.py:287:12 ] ]
	v_mov_b32_e32 v17, v16
	s_nop 1
	v_permlane32_swap_b32_e32 v16, v17
.Ltmp324:
	.loc	1 80 35                         ; attention_aot.py:80:35 @[ attention_aot.py:287:12 ]
	v_max3_f32 v57, v155, v16, v17
	.loc	1 81 18                         ; attention_aot.py:81:18 @[ attention_aot.py:287:12 ]
	v_sub_f32_e32 v16, v78, v57
	v_sub_f32_e32 v17, v79, v57
	;; [unrolled: 1-line block ×3, first 2 shown]
	.loc	1 89 25                         ; attention_aot.py:89:25 @[ attention_aot.py:287:12 ]
	v_exp_f32_e32 v78, v16
	v_exp_f32_e32 v17, v17
	.loc	1 81 18                         ; attention_aot.py:81:18 @[ attention_aot.py:287:12 ]
	v_sub_f32_e32 v19, v107, v57
	.loc	1 89 25                         ; attention_aot.py:89:25 @[ attention_aot.py:287:12 ]
	v_exp_f32_e32 v18, v18
	.loc	1 81 18                         ; attention_aot.py:81:18 @[ attention_aot.py:287:12 ]
	v_sub_f32_e32 v20, v108, v57
	.loc	1 89 25                         ; attention_aot.py:89:25 @[ attention_aot.py:287:12 ]
	;; [unrolled: 4-line block ×4, first 2 shown]
	v_exp_f32_e32 v21, v21
.Ltmp325:
	.loc	2 263 15                        ; standard.py:263:15 @[ standard.py:293:36 @[ attention_aot.py:90:25 @[ attention_aot.py:287:12 ] ] ]
	v_add_f32_e32 v16, v78, v17
.Ltmp326:
	.loc	1 81 18                         ; attention_aot.py:81:18 @[ attention_aot.py:287:12 ]
	v_sub_f32_e32 v23, v111, v57
	.loc	1 89 25                         ; attention_aot.py:89:25 @[ attention_aot.py:287:12 ]
	v_exp_f32_e32 v22, v22
.Ltmp327:
	.loc	2 263 15                        ; standard.py:263:15 @[ standard.py:293:36 @[ attention_aot.py:90:25 @[ attention_aot.py:287:12 ] ] ]
	v_add_f32_e32 v16, v18, v16
.Ltmp328:
	.loc	1 81 18                         ; attention_aot.py:81:18 @[ attention_aot.py:287:12 ]
	v_sub_f32_e32 v24, v150, v57
	.loc	1 89 25                         ; attention_aot.py:89:25 @[ attention_aot.py:287:12 ]
	v_exp_f32_e32 v23, v23
.Ltmp329:
	.loc	2 263 15                        ; standard.py:263:15 @[ standard.py:293:36 @[ attention_aot.py:90:25 @[ attention_aot.py:287:12 ] ] ]
	v_add_f32_e32 v16, v19, v16
.Ltmp330:
	.loc	1 81 18                         ; attention_aot.py:81:18 @[ attention_aot.py:287:12 ]
	v_sub_f32_e32 v25, v152, v57
	v_sub_f32_e32 v32, v161, v57
	.loc	1 89 25                         ; attention_aot.py:89:25 @[ attention_aot.py:287:12 ]
	v_exp_f32_e32 v24, v24
.Ltmp331:
	.loc	2 263 15                        ; standard.py:263:15 @[ standard.py:293:36 @[ attention_aot.py:90:25 @[ attention_aot.py:287:12 ] ] ]
	v_add_f32_e32 v16, v20, v16
.Ltmp332:
	.loc	1 81 18                         ; attention_aot.py:81:18 @[ attention_aot.py:287:12 ]
	v_sub_f32_e32 v26, v153, v57
	v_sub_f32_e32 v40, v169, v57
	.loc	1 89 25                         ; attention_aot.py:89:25 @[ attention_aot.py:287:12 ]
	v_exp_f32_e32 v25, v25
	v_exp_f32_e32 v32, v32
.Ltmp333:
	.loc	2 263 15                        ; standard.py:263:15 @[ standard.py:293:36 @[ attention_aot.py:90:25 @[ attention_aot.py:287:12 ] ] ]
	v_add_f32_e32 v16, v21, v16
.Ltmp334:
	.loc	1 81 18                         ; attention_aot.py:81:18 @[ attention_aot.py:287:12 ]
	v_sub_f32_e32 v27, v154, v57
	.loc	1 89 25                         ; attention_aot.py:89:25 @[ attention_aot.py:287:12 ]
	v_exp_f32_e32 v26, v26
	v_exp_f32_e32 v40, v40
.Ltmp335:
	.loc	2 263 15                        ; standard.py:263:15 @[ standard.py:293:36 @[ attention_aot.py:90:25 @[ attention_aot.py:287:12 ] ] ]
	v_add_f32_e32 v16, v22, v16
.Ltmp336:
	.loc	1 92 35                         ; attention_aot.py:92:35 @[ attention_aot.py:287:12 ]
	v_sub_f32_e32 v79, v155, v57
	.loc	1 81 18                         ; attention_aot.py:81:18 @[ attention_aot.py:287:12 ]
	v_sub_f32_e32 v33, v162, v57
	.loc	1 89 25                         ; attention_aot.py:89:25 @[ attention_aot.py:287:12 ]
	v_exp_f32_e32 v27, v27
.Ltmp337:
	.loc	2 263 15                        ; standard.py:263:15 @[ standard.py:293:36 @[ attention_aot.py:90:25 @[ attention_aot.py:287:12 ] ] ]
	v_add_f32_e32 v16, v23, v16
.Ltmp338:
	.loc	1 92 29                         ; attention_aot.py:92:29 @[ attention_aot.py:287:12 ]
	v_exp_f32_e32 v79, v79
	.loc	1 102 21                        ; attention_aot.py:102:21 @[ attention_aot.py:287:12 ]
	v_cvt_f16_f32_e32 v78, v78
	.loc	1 81 18                         ; attention_aot.py:81:18 @[ attention_aot.py:287:12 ]
	v_sub_f32_e32 v41, v170, v57
	.loc	1 89 25                         ; attention_aot.py:89:25 @[ attention_aot.py:287:12 ]
	v_exp_f32_e32 v33, v33
.Ltmp339:
	.loc	2 263 15                        ; standard.py:263:15 @[ standard.py:293:36 @[ attention_aot.py:90:25 @[ attention_aot.py:287:12 ] ] ]
	v_add_f32_e32 v16, v24, v16
.Ltmp340:
	.loc	1 102 21                        ; attention_aot.py:102:21 @[ attention_aot.py:287:12 ]
	v_cvt_f16_f32_e32 v24, v24
	.loc	1 89 25                         ; attention_aot.py:89:25 @[ attention_aot.py:287:12 ]
	v_exp_f32_e32 v41, v41
.Ltmp341:
	.loc	2 263 15                        ; standard.py:263:15 @[ standard.py:293:36 @[ attention_aot.py:90:25 @[ attention_aot.py:287:12 ] ] ]
	v_add_f32_e32 v16, v25, v16
.Ltmp342:
	.loc	1 102 21                        ; attention_aot.py:102:21 @[ attention_aot.py:287:12 ]
	v_cvt_f16_f32_e32 v107, v32
.Ltmp343:
	.loc	2 263 15                        ; standard.py:263:15 @[ standard.py:293:36 @[ attention_aot.py:90:25 @[ attention_aot.py:287:12 ] ] ]
	v_add_f32_e32 v16, v26, v16
.Ltmp344:
	.loc	1 102 21                        ; attention_aot.py:102:21 @[ attention_aot.py:287:12 ]
	v_cvt_f16_f32_e32 v108, v40
	v_cvt_f16_f32_e32 v17, v17
	.loc	1 81 18                         ; attention_aot.py:81:18 @[ attention_aot.py:287:12 ]
	v_sub_f32_e32 v34, v163, v57
.Ltmp345:
	.loc	2 263 15                        ; standard.py:263:15 @[ standard.py:293:36 @[ attention_aot.py:90:25 @[ attention_aot.py:287:12 ] ] ]
	v_add_f32_e32 v106, v27, v16
.Ltmp346:
	.loc	1 95 20                         ; attention_aot.py:95:20 @[ attention_aot.py:287:12 ]
	ds_write_b32 v80, v79
	s_waitcnt lgkmcnt(0)
	s_barrier
	ds_read_b32 v16, v81
	.loc	1 102 21                        ; attention_aot.py:102:21 @[ attention_aot.py:287:12 ]
	s_waitcnt lgkmcnt(0)
	s_barrier
	ds_write_b16 v88, v78
	ds_write_b16 v88, v24 offset:4096
	ds_write_b16 v88, v107 offset:8192
	;; [unrolled: 1-line block ×3, first 2 shown]
	v_cvt_f16_f32_e32 v24, v25
	.loc	1 81 18                         ; attention_aot.py:81:18 @[ attention_aot.py:287:12 ]
	v_sub_f32_e32 v42, v171, v57
	.loc	1 89 25                         ; attention_aot.py:89:25 @[ attention_aot.py:287:12 ]
	v_exp_f32_e32 v34, v34
	.loc	1 102 21                        ; attention_aot.py:102:21 @[ attention_aot.py:287:12 ]
	v_cvt_f16_f32_e32 v25, v33
	.loc	1 89 25                         ; attention_aot.py:89:25 @[ attention_aot.py:287:12 ]
	v_exp_f32_e32 v42, v42
	.loc	1 102 21                        ; attention_aot.py:102:21 @[ attention_aot.py:287:12 ]
	v_cvt_f16_f32_e32 v78, v41
	ds_write_b16 v89, v17 offset:256
	ds_write_b16 v89, v24 offset:4352
	;; [unrolled: 1-line block ×4, first 2 shown]
	v_cvt_f16_f32_e32 v17, v18
	.loc	1 81 18                         ; attention_aot.py:81:18 @[ attention_aot.py:287:12 ]
	v_sub_f32_e32 v35, v164, v57
	.loc	1 102 21                        ; attention_aot.py:102:21 @[ attention_aot.py:287:12 ]
	v_cvt_f16_f32_e32 v18, v26
	.loc	1 81 18                         ; attention_aot.py:81:18 @[ attention_aot.py:287:12 ]
	v_sub_f32_e32 v43, v172, v57
	.loc	1 89 25                         ; attention_aot.py:89:25 @[ attention_aot.py:287:12 ]
	v_exp_f32_e32 v35, v35
	.loc	1 102 21                        ; attention_aot.py:102:21 @[ attention_aot.py:287:12 ]
	v_cvt_f16_f32_e32 v24, v34
	.loc	1 89 25                         ; attention_aot.py:89:25 @[ attention_aot.py:287:12 ]
	v_exp_f32_e32 v43, v43
	.loc	1 102 21                        ; attention_aot.py:102:21 @[ attention_aot.py:287:12 ]
	v_cvt_f16_f32_e32 v25, v42
	.loc	1 81 18                         ; attention_aot.py:81:18 @[ attention_aot.py:287:12 ]
	v_sub_f32_e32 v28, v156, v57
	.loc	1 102 21                        ; attention_aot.py:102:21 @[ attention_aot.py:287:12 ]
	ds_write_b16 v90, v17 offset:512
	ds_write_b16 v90, v18 offset:4608
	ds_write_b16 v90, v24 offset:8704
	ds_write_b16 v90, v25 offset:12800
	v_cvt_f16_f32_e32 v17, v19
	.loc	1 81 18                         ; attention_aot.py:81:18 @[ attention_aot.py:287:12 ]
	v_sub_f32_e32 v36, v165, v57
	.loc	1 89 25                         ; attention_aot.py:89:25 @[ attention_aot.py:287:12 ]
	v_exp_f32_e32 v28, v28
	.loc	1 102 21                        ; attention_aot.py:102:21 @[ attention_aot.py:287:12 ]
	v_cvt_f16_f32_e32 v18, v27
	.loc	1 81 18                         ; attention_aot.py:81:18 @[ attention_aot.py:287:12 ]
	v_sub_f32_e32 v44, v173, v57
	.loc	1 89 25                         ; attention_aot.py:89:25 @[ attention_aot.py:287:12 ]
	v_exp_f32_e32 v36, v36
	.loc	1 102 21                        ; attention_aot.py:102:21 @[ attention_aot.py:287:12 ]
	v_cvt_f16_f32_e32 v19, v35
	.loc	1 89 25                         ; attention_aot.py:89:25 @[ attention_aot.py:287:12 ]
	v_exp_f32_e32 v44, v44
	.loc	1 102 21                        ; attention_aot.py:102:21 @[ attention_aot.py:287:12 ]
	v_cvt_f16_f32_e32 v24, v43
	.loc	1 81 18                         ; attention_aot.py:81:18 @[ attention_aot.py:287:12 ]
	v_sub_f32_e32 v29, v158, v57
	.loc	1 102 21                        ; attention_aot.py:102:21 @[ attention_aot.py:287:12 ]
	ds_write_b16 v91, v17 offset:768
	ds_write_b16 v91, v18 offset:4864
	ds_write_b16 v91, v19 offset:8960
	ds_write_b16 v91, v24 offset:13056
	v_cvt_f16_f32_e32 v17, v20
	.loc	1 81 18                         ; attention_aot.py:81:18 @[ attention_aot.py:287:12 ]
	v_sub_f32_e32 v37, v166, v57
	.loc	1 89 25                         ; attention_aot.py:89:25 @[ attention_aot.py:287:12 ]
	v_exp_f32_e32 v29, v29
	;; [unrolled: 24-line block ×3, first 2 shown]
	.loc	1 102 21                        ; attention_aot.py:102:21 @[ attention_aot.py:287:12 ]
	v_cvt_f16_f32_e32 v18, v29
	.loc	1 81 18                         ; attention_aot.py:81:18 @[ attention_aot.py:287:12 ]
	v_sub_f32_e32 v46, v175, v57
	.loc	1 89 25                         ; attention_aot.py:89:25 @[ attention_aot.py:287:12 ]
	v_exp_f32_e32 v38, v38
	.loc	1 102 21                        ; attention_aot.py:102:21 @[ attention_aot.py:287:12 ]
	v_cvt_f16_f32_e32 v19, v37
	.loc	1 89 25                         ; attention_aot.py:89:25 @[ attention_aot.py:287:12 ]
	v_exp_f32_e32 v46, v46
	.loc	1 102 21                        ; attention_aot.py:102:21 @[ attention_aot.py:287:12 ]
	v_cvt_f16_f32_e32 v20, v45
	ds_write_b16 v93, v17 offset:2304
	ds_write_b16 v93, v18 offset:6400
	;; [unrolled: 1-line block ×4, first 2 shown]
	v_cvt_f16_f32_e32 v17, v22
	v_cvt_f16_f32_e32 v18, v30
	;; [unrolled: 1-line block ×4, first 2 shown]
	ds_write_b16 v94, v17 offset:2560
	ds_write_b16 v94, v18 offset:6656
	;; [unrolled: 1-line block ×4, first 2 shown]
	v_cvt_f16_f32_e32 v17, v23
	.loc	1 81 18                         ; attention_aot.py:81:18 @[ attention_aot.py:287:12 ]
	v_sub_f32_e32 v31, v160, v57
	.loc	1 89 25                         ; attention_aot.py:89:25 @[ attention_aot.py:287:12 ]
	v_exp_f32_e32 v31, v31
	.loc	1 81 18                         ; attention_aot.py:81:18 @[ attention_aot.py:287:12 ]
	v_sub_f32_e32 v39, v168, v57
	.loc	1 104 31                        ; attention_aot.py:104:31 @[ attention_aot.py:287:12 ]
	v_pk_mul_f32 v[14:15], v[14:15], v[16:17] op_sel_hi:[1,0]
	v_pk_mul_f32 v[12:13], v[12:13], v[16:17] op_sel_hi:[1,0]
	;; [unrolled: 1-line block ×8, first 2 shown]
.Ltmp347:
	.loc	2 263 15                        ; standard.py:263:15 @[ standard.py:293:36 @[ attention_aot.py:90:25 @[ attention_aot.py:287:12 ] ] ]
	v_add_f32_e32 v16, v28, v106
	v_add_f32_e32 v16, v29, v16
	;; [unrolled: 1-line block ×3, first 2 shown]
.Ltmp348:
	.loc	1 81 18                         ; attention_aot.py:81:18 @[ attention_aot.py:287:12 ]
	v_sub_f32_e32 v47, v151, v57
	.loc	1 89 25                         ; attention_aot.py:89:25 @[ attention_aot.py:287:12 ]
	v_exp_f32_e32 v39, v39
.Ltmp349:
	.loc	2 263 15                        ; standard.py:263:15 @[ standard.py:293:36 @[ attention_aot.py:90:25 @[ attention_aot.py:287:12 ] ] ]
	v_add_f32_e32 v16, v31, v16
.Ltmp350:
	.loc	1 89 25                         ; attention_aot.py:89:25 @[ attention_aot.py:287:12 ]
	v_exp_f32_e32 v47, v47
.Ltmp351:
	.loc	2 263 15                        ; standard.py:263:15 @[ standard.py:293:36 @[ attention_aot.py:90:25 @[ attention_aot.py:287:12 ] ] ]
	v_add_f32_e32 v16, v32, v16
	v_add_f32_e32 v16, v33, v16
.Ltmp352:
	.loc	1 102 21                        ; attention_aot.py:102:21 @[ attention_aot.py:287:12 ]
	v_cvt_f16_f32_e32 v18, v31
.Ltmp353:
	.loc	2 263 15                        ; standard.py:263:15 @[ standard.py:293:36 @[ attention_aot.py:90:25 @[ attention_aot.py:287:12 ] ] ]
	v_add_f32_e32 v16, v34, v16
.Ltmp354:
	.loc	1 102 21                        ; attention_aot.py:102:21 @[ attention_aot.py:287:12 ]
	v_cvt_f16_f32_e32 v19, v39
.Ltmp355:
	.loc	2 263 15                        ; standard.py:263:15 @[ standard.py:293:36 @[ attention_aot.py:90:25 @[ attention_aot.py:287:12 ] ] ]
	v_add_f32_e32 v16, v35, v16
.Ltmp356:
	.loc	1 102 21                        ; attention_aot.py:102:21 @[ attention_aot.py:287:12 ]
	v_cvt_f16_f32_e32 v20, v47
.Ltmp357:
	.loc	2 263 15                        ; standard.py:263:15 @[ standard.py:293:36 @[ attention_aot.py:90:25 @[ attention_aot.py:287:12 ] ] ]
	v_add_f32_e32 v16, v36, v16
.Ltmp358:
	.loc	1 102 21                        ; attention_aot.py:102:21 @[ attention_aot.py:287:12 ]
	ds_write_b16 v95, v17 offset:2816
	ds_write_b16 v95, v18 offset:6912
	ds_write_b16 v95, v19 offset:11008
	ds_write_b16 v95, v20 offset:15104
	s_waitcnt lgkmcnt(0)
	s_barrier
	ds_read_b64_tr_b16 v[18:19], v96
	ds_read_b64_tr_b16 v[22:23], v96 offset:4096
	ds_read_b64_tr_b16 v[108:109], v96 offset:8192
	;; [unrolled: 1-line block ×7, first 2 shown]
.Ltmp359:
	.loc	2 263 15                        ; standard.py:263:15 @[ standard.py:293:36 @[ attention_aot.py:90:25 @[ attention_aot.py:287:12 ] ] ]
	v_add_f32_e32 v16, v37, v16
	v_add_f32_e32 v16, v38, v16
.Ltmp360:
	.loc	1 104 31                        ; attention_aot.py:104:31 @[ attention_aot.py:287:12 ]
	s_waitcnt lgkmcnt(3)
	v_mfma_f32_32x32x16_f16 v[0:15], v[98:101], v[18:21], v[0:15]
.Ltmp361:
	.loc	2 263 15                        ; standard.py:263:15 @[ standard.py:293:36 @[ attention_aot.py:90:25 @[ attention_aot.py:287:12 ] ] ]
	v_add_f32_e32 v16, v39, v16
	v_add_f32_e32 v16, v40, v16
	;; [unrolled: 1-line block ×4, first 2 shown]
.Ltmp362:
	.loc	1 54 22                         ; attention_aot.py:54:22 @[ attention_aot.py:287:12 ]
	s_waitcnt vmcnt(0)
	ds_write_b16 v146, v52 offset:16384
	ds_write_b16 v146, v54 offset:18432
	;; [unrolled: 1-line block ×8, first 2 shown]
	.loc	1 56 28                         ; attention_aot.py:56:28 @[ attention_aot.py:287:12 ]
	ds_write_b16 v148, v62 offset:24576
	ds_write_b16 v148, v64 offset:26624
	;; [unrolled: 1-line block ×8, first 2 shown]
	.loc	1 54 22                         ; attention_aot.py:54:22 @[ attention_aot.py:287:12 ]
	s_waitcnt lgkmcnt(0)
	s_barrier
	ds_read_b64_tr_b16 v[34:35], v86 offset:16384
	ds_read_b64_tr_b16 v[36:37], v87 offset:16384
.Ltmp363:
	.loc	2 263 15                        ; standard.py:263:15 @[ standard.py:293:36 @[ attention_aot.py:90:25 @[ attention_aot.py:287:12 ] ] ]
	v_add_f32_e32 v16, v43, v16
	v_add_f32_e32 v16, v44, v16
	;; [unrolled: 1-line block ×4, first 2 shown]
.Ltmp364:
	.loc	1 104 31                        ; attention_aot.py:104:31 @[ attention_aot.py:287:12 ]
	v_mfma_f32_32x32x16_f16 v[0:15], v[74:77], v[22:25], v[0:15]
.Ltmp365:
	.loc	2 263 15                        ; standard.py:263:15 @[ standard.py:293:36 @[ attention_aot.py:90:25 @[ attention_aot.py:287:12 ] ] ]
	v_add_f32_e32 v32, v47, v16
.Ltmp366:
	.loc	1 54 22                         ; attention_aot.py:54:22 @[ attention_aot.py:287:12 ]
	ds_read_b64_tr_b16 v[38:39], v86 offset:18432
	ds_read_b64_tr_b16 v[42:43], v86 offset:20480
	;; [unrolled: 1-line block ×8, first 2 shown]
.Ltmp367:
	.loc	2 293 36                        ; standard.py:293:36 @[ attention_aot.py:90:25 @[ attention_aot.py:287:12 ] ]
	v_mov_b32_e32 v33, v32
	s_nop 1
	v_permlane32_swap_b32_e32 v32, v33
.Ltmp368:
	.loc	2 263 15                        ; standard.py:263:15 @[ standard.py:293:36 @[ attention_aot.py:90:25 @[ attention_aot.py:287:12 ] ] ]
	v_add_f32_e32 v51, v32, v33
.Ltmp369:
	.loc	1 58 27                         ; attention_aot.py:58:27 @[ attention_aot.py:287:12 ]
	s_waitcnt lgkmcnt(8)
	v_mfma_f32_32x32x16_f16 v[16:31], v[34:37], v[214:217], 0
	.loc	1 51 34                         ; attention_aot.py:51:34 @[ attention_aot.py:287:12 ]
	v_or_b32_e32 v100, s2, v130
	v_or_b32_e32 v101, s2, v131
	;; [unrolled: 1-line block ×4, first 2 shown]
	.loc	1 51 44 is_stmt 0               ; attention_aot.py:51:44 @[ attention_aot.py:287:12 ]
	v_cmp_gt_i32_e64 s[0:1], s66, v52
	.loc	1 51 34                         ; attention_aot.py:51:34 @[ attention_aot.py:287:12 ]
	v_or_b32_e32 v55, s2, v143
	v_or_b32_e32 v56, s2, v144
	.loc	1 58 27 is_stmt 1               ; attention_aot.py:58:27 @[ attention_aot.py:287:12 ]
	s_waitcnt lgkmcnt(4)
	v_mfma_f32_32x32x16_f16 v[16:31], v[38:41], v[210:213], v[16:31]
	.loc	1 51 34                         ; attention_aot.py:51:34 @[ attention_aot.py:287:12 ]
	v_or_b32_e32 v58, s2, v145
	v_or_b32_e32 v59, s2, v135
	;; [unrolled: 1-line block ×3, first 2 shown]
	.loc	1 93 20                         ; attention_aot.py:93:20 @[ attention_aot.py:287:12 ]
	v_mul_f32_e32 v53, v157, v79
	.loc	1 51 34                         ; attention_aot.py:51:34 @[ attention_aot.py:287:12 ]
	v_or_b32_e32 v79, s2, v137
	v_or_b32_e32 v86, s2, v138
	;; [unrolled: 1-line block ×3, first 2 shown]
	.loc	1 104 31                        ; attention_aot.py:104:31 @[ attention_aot.py:287:12 ]
	v_mfma_f32_32x32x16_f16 v[0:15], v[70:73], v[108:111], v[0:15]
	.loc	1 51 34                         ; attention_aot.py:51:34 @[ attention_aot.py:287:12 ]
	v_or_b32_e32 v98, s2, v140
	v_or_b32_e32 v99, s2, v141
	;; [unrolled: 1-line block ×7, first 2 shown]
	.loc	1 58 27                         ; attention_aot.py:58:27 @[ attention_aot.py:287:12 ]
	s_waitcnt lgkmcnt(3)
	v_mfma_f32_32x32x16_f16 v[16:31], v[42:45], v[206:209], v[16:31]
	.loc	1 51 34                         ; attention_aot.py:51:34 @[ attention_aot.py:287:12 ]
	v_or_b32_e32 v111, s2, v115
	v_or_b32_e32 v114, s2, v116
	;; [unrolled: 1-line block ×7, first 2 shown]
	.loc	1 58 27                         ; attention_aot.py:58:27 @[ attention_aot.py:287:12 ]
	s_waitcnt lgkmcnt(0)
	v_mfma_f32_32x32x16_f16 v[32:47], v[66:69], v[214:217], 0
	.loc	1 104 31                        ; attention_aot.py:104:31 @[ attention_aot.py:287:12 ]
	v_mfma_f32_32x32x16_f16 v[0:15], v[102:105], v[150:153], v[0:15]
	.loc	1 51 34                         ; attention_aot.py:51:34 @[ attention_aot.py:287:12 ]
	v_or_b32_e32 v102, s2, v132
	v_or_b32_e32 v103, s2, v133
	;; [unrolled: 1-line block ×4, first 2 shown]
	.loc	1 58 27                         ; attention_aot.py:58:27 @[ attention_aot.py:287:12 ]
	v_mfma_f32_32x32x16_f16 v[16:31], v[62:65], v[202:205], v[16:31]
	.loc	1 54 22                         ; attention_aot.py:54:22 @[ attention_aot.py:287:12 ]
	ds_read_b64_tr_b16 v[62:63], v84 offset:18432
	ds_read_b64_tr_b16 v[70:71], v84 offset:20480
	;; [unrolled: 1-line block ×6, first 2 shown]
	.loc	1 51 34                         ; attention_aot.py:51:34 @[ attention_aot.py:287:12 ]
	v_or_b32_e32 v84, s2, v122
	v_or_b32_e32 v85, s2, v123
	.loc	1 60 49                         ; attention_aot.py:60:49 @[ attention_aot.py:287:12 ]
	s_nop 3
	v_cndmask_b32_e64 v16, v60, v16, s[0:1]
	.loc	1 58 27                         ; attention_aot.py:58:27 @[ attention_aot.py:287:12 ]
	s_waitcnt lgkmcnt(2)
	v_mfma_f32_32x32x16_f16 v[32:47], v[62:65], v[210:213], v[32:47]
	.loc	1 51 44                         ; attention_aot.py:51:44 @[ attention_aot.py:287:12 ]
	v_cmp_gt_i32_e64 s[0:1], s66, v54
	.loc	1 78 26                         ; attention_aot.py:78:26 @[ attention_aot.py:287:12 ]
	v_mul_f32_e32 v16, s10, v16
	.loc	1 60 49                         ; attention_aot.py:60:49 @[ attention_aot.py:287:12 ]
	s_nop 0
	v_cndmask_b32_e64 v17, v60, v17, s[0:1]
	.loc	1 51 44                         ; attention_aot.py:51:44 @[ attention_aot.py:287:12 ]
	v_cmp_gt_i32_e64 s[0:1], s66, v55
	.loc	1 78 26                         ; attention_aot.py:78:26 @[ attention_aot.py:287:12 ]
	v_mul_f32_e32 v17, s10, v17
	.loc	1 58 27                         ; attention_aot.py:58:27 @[ attention_aot.py:287:12 ]
	s_waitcnt lgkmcnt(1)
	v_mfma_f32_32x32x16_f16 v[32:47], v[70:73], v[206:209], v[32:47]
	.loc	1 60 49                         ; attention_aot.py:60:49 @[ attention_aot.py:287:12 ]
	v_cndmask_b32_e64 v18, v60, v18, s[0:1]
	.loc	1 51 44                         ; attention_aot.py:51:44 @[ attention_aot.py:287:12 ]
	v_cmp_gt_i32_e64 s[0:1], s66, v56
	.loc	1 56 28                         ; attention_aot.py:56:28 @[ attention_aot.py:287:12 ]
	ds_read_b64_tr_b16 v[74:75], v82 offset:24576
	ds_read_b64_tr_b16 v[70:71], v82 offset:26624
	;; [unrolled: 1-line block ×8, first 2 shown]
	.loc	1 60 49                         ; attention_aot.py:60:49 @[ attention_aot.py:287:12 ]
	v_cndmask_b32_e64 v19, v60, v19, s[0:1]
	.loc	1 51 44                         ; attention_aot.py:51:44 @[ attention_aot.py:287:12 ]
	v_cmp_gt_i32_e64 s[0:1], s66, v58
	.loc	1 78 26                         ; attention_aot.py:78:26 @[ attention_aot.py:287:12 ]
	v_mul_f32_e32 v18, s10, v18
	v_mul_f32_e32 v19, s10, v19
	.loc	1 60 49                         ; attention_aot.py:60:49 @[ attention_aot.py:287:12 ]
	v_cndmask_b32_e64 v20, v60, v20, s[0:1]
	.loc	1 51 44                         ; attention_aot.py:51:44 @[ attention_aot.py:287:12 ]
	v_cmp_gt_i32_e64 s[0:1], s66, v59
	.loc	1 58 27                         ; attention_aot.py:58:27 @[ attention_aot.py:287:12 ]
	s_waitcnt lgkmcnt(8)
	v_mfma_f32_32x32x16_f16 v[32:47], v[130:133], v[202:205], v[32:47]
	.loc	1 78 26                         ; attention_aot.py:78:26 @[ attention_aot.py:287:12 ]
	v_mul_f32_e32 v20, s10, v20
	.loc	1 60 49                         ; attention_aot.py:60:49 @[ attention_aot.py:287:12 ]
	v_cndmask_b32_e64 v21, v60, v21, s[0:1]
	.loc	1 51 44                         ; attention_aot.py:51:44 @[ attention_aot.py:287:12 ]
	v_cmp_gt_i32_e64 s[0:1], s66, v78
	.loc	1 78 26                         ; attention_aot.py:78:26 @[ attention_aot.py:287:12 ]
	v_mul_f32_e32 v21, s10, v21
	.loc	1 60 49                         ; attention_aot.py:60:49 @[ attention_aot.py:287:12 ]
	s_nop 0
	v_cndmask_b32_e64 v22, v60, v22, s[0:1]
	.loc	1 51 44                         ; attention_aot.py:51:44 @[ attention_aot.py:287:12 ]
	v_cmp_gt_i32_e64 s[0:1], s66, v79
	.loc	1 78 26                         ; attention_aot.py:78:26 @[ attention_aot.py:287:12 ]
	v_mul_f32_e32 v22, s10, v22
	.loc	1 60 49                         ; attention_aot.py:60:49 @[ attention_aot.py:287:12 ]
	s_nop 0
	;; [unrolled: 7-line block ×26, first 2 shown]
	v_cndmask_b32_e64 v47, v60, v47, s[0:1]
	.loc	1 71 39                         ; attention_aot.py:71:39 @[ attention_aot.py:287:12 ]
	v_cmp_lt_i32_e64 s[0:1], v50, v52
	.loc	1 78 26                         ; attention_aot.py:78:26 @[ attention_aot.py:287:12 ]
	v_mul_f32_e32 v47, s10, v47
	.loc	1 78 63 is_stmt 0               ; attention_aot.py:78:63 @[ attention_aot.py:287:12 ]
	s_nop 0
	v_cndmask_b32_e64 v52, 0, v61, s[0:1]
	.loc	1 71 39 is_stmt 1               ; attention_aot.py:71:39 @[ attention_aot.py:287:12 ]
	v_cmp_lt_i32_e64 s[0:1], v50, v54
	.loc	1 78 45                         ; attention_aot.py:78:45 @[ attention_aot.py:287:12 ]
	v_fmac_f32_e32 v52, 0x3fb8aa3b, v16
	.loc	1 78 63 is_stmt 0               ; attention_aot.py:78:63 @[ attention_aot.py:287:12 ]
	s_nop 0
	v_cndmask_b32_e64 v54, 0, v61, s[0:1]
	.loc	1 71 39 is_stmt 1               ; attention_aot.py:71:39 @[ attention_aot.py:287:12 ]
	v_cmp_lt_i32_e64 s[0:1], v50, v55
	.loc	1 78 45                         ; attention_aot.py:78:45 @[ attention_aot.py:287:12 ]
	v_fmac_f32_e32 v54, 0x3fb8aa3b, v17
.Ltmp370:
	.loc	2 170 27                        ; standard.py:170:27 @[ standard.py:191:40 @[ attention_aot.py:80:46 @[ attention_aot.py:287:12 ] ] ]
	v_max_f32_e32 v16, v52, v54
.Ltmp371:
	.loc	1 78 63                         ; attention_aot.py:78:63 @[ attention_aot.py:287:12 ]
	v_cndmask_b32_e64 v55, 0, v61, s[0:1]
	.loc	1 71 39                         ; attention_aot.py:71:39 @[ attention_aot.py:287:12 ]
	v_cmp_lt_i32_e64 s[0:1], v50, v56
	.loc	1 78 45                         ; attention_aot.py:78:45 @[ attention_aot.py:287:12 ]
	v_fmac_f32_e32 v55, 0x3fb8aa3b, v18
	.loc	1 78 63 is_stmt 0               ; attention_aot.py:78:63 @[ attention_aot.py:287:12 ]
	s_nop 0
	v_cndmask_b32_e64 v56, 0, v61, s[0:1]
	.loc	1 71 39 is_stmt 1               ; attention_aot.py:71:39 @[ attention_aot.py:287:12 ]
	v_cmp_lt_i32_e64 s[0:1], v50, v58
	.loc	1 78 45                         ; attention_aot.py:78:45 @[ attention_aot.py:287:12 ]
	v_fmac_f32_e32 v56, 0x3fb8aa3b, v19
.Ltmp372:
	.loc	2 170 27                        ; standard.py:170:27 @[ standard.py:191:40 @[ attention_aot.py:80:46 @[ attention_aot.py:287:12 ] ] ]
	v_max3_f32 v16, v16, v55, v56
.Ltmp373:
	.loc	1 78 63                         ; attention_aot.py:78:63 @[ attention_aot.py:287:12 ]
	v_cndmask_b32_e64 v58, 0, v61, s[0:1]
	.loc	1 71 39                         ; attention_aot.py:71:39 @[ attention_aot.py:287:12 ]
	v_cmp_lt_i32_e64 s[0:1], v50, v59
	.loc	1 78 45                         ; attention_aot.py:78:45 @[ attention_aot.py:287:12 ]
	v_fmac_f32_e32 v58, 0x3fb8aa3b, v20
	.loc	1 78 63 is_stmt 0               ; attention_aot.py:78:63 @[ attention_aot.py:287:12 ]
	s_nop 0
	v_cndmask_b32_e64 v59, 0, v61, s[0:1]
	.loc	1 71 39 is_stmt 1               ; attention_aot.py:71:39 @[ attention_aot.py:287:12 ]
	v_cmp_lt_i32_e64 s[0:1], v50, v78
	.loc	1 78 45                         ; attention_aot.py:78:45 @[ attention_aot.py:287:12 ]
	v_fmac_f32_e32 v59, 0x3fb8aa3b, v21
.Ltmp374:
	.loc	2 170 27                        ; standard.py:170:27 @[ standard.py:191:40 @[ attention_aot.py:80:46 @[ attention_aot.py:287:12 ] ] ]
	v_max3_f32 v16, v16, v58, v59
.Ltmp375:
	.loc	1 78 63                         ; attention_aot.py:78:63 @[ attention_aot.py:287:12 ]
	v_cndmask_b32_e64 v60, 0, v61, s[0:1]
	.loc	1 71 39                         ; attention_aot.py:71:39 @[ attention_aot.py:287:12 ]
	v_cmp_lt_i32_e64 s[0:1], v50, v79
	.loc	1 78 45                         ; attention_aot.py:78:45 @[ attention_aot.py:287:12 ]
	v_fmac_f32_e32 v60, 0x3fb8aa3b, v22
	.loc	1 78 63 is_stmt 0               ; attention_aot.py:78:63 @[ attention_aot.py:287:12 ]
	s_nop 0
	v_cndmask_b32_e64 v78, 0, v61, s[0:1]
	.loc	1 71 39 is_stmt 1               ; attention_aot.py:71:39 @[ attention_aot.py:287:12 ]
	v_cmp_lt_i32_e64 s[0:1], v50, v86
	.loc	1 78 45                         ; attention_aot.py:78:45 @[ attention_aot.py:287:12 ]
	v_fmac_f32_e32 v78, 0x3fb8aa3b, v23
.Ltmp376:
	.loc	2 170 27                        ; standard.py:170:27 @[ standard.py:191:40 @[ attention_aot.py:80:46 @[ attention_aot.py:287:12 ] ] ]
	v_max3_f32 v16, v16, v60, v78
.Ltmp377:
	.loc	1 78 63                         ; attention_aot.py:78:63 @[ attention_aot.py:287:12 ]
	v_cndmask_b32_e64 v79, 0, v61, s[0:1]
	.loc	1 71 39                         ; attention_aot.py:71:39 @[ attention_aot.py:287:12 ]
	v_cmp_lt_i32_e64 s[0:1], v50, v87
	.loc	1 78 45                         ; attention_aot.py:78:45 @[ attention_aot.py:287:12 ]
	v_fmac_f32_e32 v79, 0x3fb8aa3b, v24
	.loc	1 78 63 is_stmt 0               ; attention_aot.py:78:63 @[ attention_aot.py:287:12 ]
	s_nop 0
	v_cndmask_b32_e64 v82, 0, v61, s[0:1]
	.loc	1 71 39 is_stmt 1               ; attention_aot.py:71:39 @[ attention_aot.py:287:12 ]
	v_cmp_lt_i32_e64 s[0:1], v50, v98
	.loc	1 78 45                         ; attention_aot.py:78:45 @[ attention_aot.py:287:12 ]
	v_fmac_f32_e32 v82, 0x3fb8aa3b, v25
.Ltmp378:
	.loc	2 170 27                        ; standard.py:170:27 @[ standard.py:191:40 @[ attention_aot.py:80:46 @[ attention_aot.py:287:12 ] ] ]
	v_max3_f32 v16, v16, v79, v82
.Ltmp379:
	.loc	1 78 63                         ; attention_aot.py:78:63 @[ attention_aot.py:287:12 ]
	v_cndmask_b32_e64 v83, 0, v61, s[0:1]
	.loc	1 71 39                         ; attention_aot.py:71:39 @[ attention_aot.py:287:12 ]
	v_cmp_lt_i32_e64 s[0:1], v50, v99
	.loc	1 78 45                         ; attention_aot.py:78:45 @[ attention_aot.py:287:12 ]
	v_fmac_f32_e32 v83, 0x3fb8aa3b, v26
	.loc	1 78 63 is_stmt 0               ; attention_aot.py:78:63 @[ attention_aot.py:287:12 ]
	s_nop 0
	v_cndmask_b32_e64 v86, 0, v61, s[0:1]
	.loc	1 71 39 is_stmt 1               ; attention_aot.py:71:39 @[ attention_aot.py:287:12 ]
	v_cmp_lt_i32_e64 s[0:1], v50, v100
	.loc	1 78 45                         ; attention_aot.py:78:45 @[ attention_aot.py:287:12 ]
	v_fmac_f32_e32 v86, 0x3fb8aa3b, v27
.Ltmp380:
	.loc	2 170 27                        ; standard.py:170:27 @[ standard.py:191:40 @[ attention_aot.py:80:46 @[ attention_aot.py:287:12 ] ] ]
	v_max3_f32 v16, v16, v83, v86
.Ltmp381:
	.loc	1 78 63                         ; attention_aot.py:78:63 @[ attention_aot.py:287:12 ]
	v_cndmask_b32_e64 v87, 0, v61, s[0:1]
	.loc	1 71 39                         ; attention_aot.py:71:39 @[ attention_aot.py:287:12 ]
	v_cmp_lt_i32_e64 s[0:1], v50, v101
	.loc	1 78 45                         ; attention_aot.py:78:45 @[ attention_aot.py:287:12 ]
	v_fmac_f32_e32 v87, 0x3fb8aa3b, v28
	.loc	1 78 63 is_stmt 0               ; attention_aot.py:78:63 @[ attention_aot.py:287:12 ]
	s_nop 0
	v_cndmask_b32_e64 v98, 0, v61, s[0:1]
	.loc	1 71 39 is_stmt 1               ; attention_aot.py:71:39 @[ attention_aot.py:287:12 ]
	v_cmp_lt_i32_e64 s[0:1], v50, v102
	.loc	1 78 45                         ; attention_aot.py:78:45 @[ attention_aot.py:287:12 ]
	v_fmac_f32_e32 v98, 0x3fb8aa3b, v29
.Ltmp382:
	.loc	2 170 27                        ; standard.py:170:27 @[ standard.py:191:40 @[ attention_aot.py:80:46 @[ attention_aot.py:287:12 ] ] ]
	v_max3_f32 v16, v16, v87, v98
.Ltmp383:
	.loc	1 78 63                         ; attention_aot.py:78:63 @[ attention_aot.py:287:12 ]
	v_cndmask_b32_e64 v99, 0, v61, s[0:1]
	.loc	1 71 39                         ; attention_aot.py:71:39 @[ attention_aot.py:287:12 ]
	v_cmp_lt_i32_e64 s[0:1], v50, v103
	.loc	1 78 45                         ; attention_aot.py:78:45 @[ attention_aot.py:287:12 ]
	v_fmac_f32_e32 v99, 0x3fb8aa3b, v30
	.loc	1 78 63 is_stmt 0               ; attention_aot.py:78:63 @[ attention_aot.py:287:12 ]
	s_nop 0
	v_cndmask_b32_e64 v100, 0, v61, s[0:1]
	.loc	1 71 39 is_stmt 1               ; attention_aot.py:71:39 @[ attention_aot.py:287:12 ]
	v_cmp_lt_i32_e64 s[0:1], v50, v104
	.loc	1 78 45                         ; attention_aot.py:78:45 @[ attention_aot.py:287:12 ]
	v_fmac_f32_e32 v100, 0x3fb8aa3b, v31
.Ltmp384:
	.loc	2 170 27                        ; standard.py:170:27 @[ standard.py:191:40 @[ attention_aot.py:80:46 @[ attention_aot.py:287:12 ] ] ]
	v_max3_f32 v16, v16, v99, v100
.Ltmp385:
	.loc	1 78 63                         ; attention_aot.py:78:63 @[ attention_aot.py:287:12 ]
	v_cndmask_b32_e64 v101, 0, v61, s[0:1]
	.loc	1 71 39                         ; attention_aot.py:71:39 @[ attention_aot.py:287:12 ]
	v_cmp_lt_i32_e64 s[0:1], v50, v105
	.loc	1 78 45                         ; attention_aot.py:78:45 @[ attention_aot.py:287:12 ]
	v_fmac_f32_e32 v101, 0x3fb8aa3b, v32
	.loc	1 78 63 is_stmt 0               ; attention_aot.py:78:63 @[ attention_aot.py:287:12 ]
	s_nop 0
	v_cndmask_b32_e64 v102, 0, v61, s[0:1]
	.loc	1 71 39 is_stmt 1               ; attention_aot.py:71:39 @[ attention_aot.py:287:12 ]
	v_cmp_lt_i32_e64 s[0:1], v50, v84
	.loc	1 78 45                         ; attention_aot.py:78:45 @[ attention_aot.py:287:12 ]
	v_fmac_f32_e32 v102, 0x3fb8aa3b, v33
.Ltmp386:
	.loc	2 170 27                        ; standard.py:170:27 @[ standard.py:191:40 @[ attention_aot.py:80:46 @[ attention_aot.py:287:12 ] ] ]
	v_max3_f32 v16, v16, v101, v102
.Ltmp387:
	.loc	1 78 63                         ; attention_aot.py:78:63 @[ attention_aot.py:287:12 ]
	v_cndmask_b32_e64 v84, 0, v61, s[0:1]
	.loc	1 71 39                         ; attention_aot.py:71:39 @[ attention_aot.py:287:12 ]
	v_cmp_lt_i32_e64 s[0:1], v50, v85
	.loc	1 78 45                         ; attention_aot.py:78:45 @[ attention_aot.py:287:12 ]
	v_fmac_f32_e32 v84, 0x3fb8aa3b, v34
	.loc	1 78 63 is_stmt 0               ; attention_aot.py:78:63 @[ attention_aot.py:287:12 ]
	s_nop 0
	v_cndmask_b32_e64 v85, 0, v61, s[0:1]
	.loc	1 71 39 is_stmt 1               ; attention_aot.py:71:39 @[ attention_aot.py:287:12 ]
	v_cmp_lt_i32_e64 s[0:1], v50, v106
	.loc	1 78 45                         ; attention_aot.py:78:45 @[ attention_aot.py:287:12 ]
	v_fmac_f32_e32 v85, 0x3fb8aa3b, v35
.Ltmp388:
	.loc	2 170 27                        ; standard.py:170:27 @[ standard.py:191:40 @[ attention_aot.py:80:46 @[ attention_aot.py:287:12 ] ] ]
	v_max3_f32 v16, v16, v84, v85
.Ltmp389:
	.loc	1 78 63                         ; attention_aot.py:78:63 @[ attention_aot.py:287:12 ]
	v_cndmask_b32_e64 v103, 0, v61, s[0:1]
	.loc	1 71 39                         ; attention_aot.py:71:39 @[ attention_aot.py:287:12 ]
	v_cmp_lt_i32_e64 s[0:1], v50, v107
	.loc	1 78 45                         ; attention_aot.py:78:45 @[ attention_aot.py:287:12 ]
	v_fmac_f32_e32 v103, 0x3fb8aa3b, v36
	.loc	1 78 63 is_stmt 0               ; attention_aot.py:78:63 @[ attention_aot.py:287:12 ]
	s_nop 0
	v_cndmask_b32_e64 v104, 0, v61, s[0:1]
	.loc	1 71 39 is_stmt 1               ; attention_aot.py:71:39 @[ attention_aot.py:287:12 ]
	v_cmp_lt_i32_e64 s[0:1], v50, v108
	.loc	1 78 45                         ; attention_aot.py:78:45 @[ attention_aot.py:287:12 ]
	v_fmac_f32_e32 v104, 0x3fb8aa3b, v37
.Ltmp390:
	.loc	2 170 27                        ; standard.py:170:27 @[ standard.py:191:40 @[ attention_aot.py:80:46 @[ attention_aot.py:287:12 ] ] ]
	v_max3_f32 v16, v16, v103, v104
.Ltmp391:
	.loc	1 78 63                         ; attention_aot.py:78:63 @[ attention_aot.py:287:12 ]
	v_cndmask_b32_e64 v105, 0, v61, s[0:1]
	.loc	1 71 39                         ; attention_aot.py:71:39 @[ attention_aot.py:287:12 ]
	v_cmp_lt_i32_e64 s[0:1], v50, v109
	.loc	1 78 45                         ; attention_aot.py:78:45 @[ attention_aot.py:287:12 ]
	v_fmac_f32_e32 v105, 0x3fb8aa3b, v38
	.loc	1 78 63 is_stmt 0               ; attention_aot.py:78:63 @[ attention_aot.py:287:12 ]
	s_nop 0
	v_cndmask_b32_e64 v106, 0, v61, s[0:1]
	.loc	1 71 39 is_stmt 1               ; attention_aot.py:71:39 @[ attention_aot.py:287:12 ]
	v_cmp_lt_i32_e64 s[0:1], v50, v110
	.loc	1 78 45                         ; attention_aot.py:78:45 @[ attention_aot.py:287:12 ]
	v_fmac_f32_e32 v106, 0x3fb8aa3b, v39
.Ltmp392:
	.loc	2 170 27                        ; standard.py:170:27 @[ standard.py:191:40 @[ attention_aot.py:80:46 @[ attention_aot.py:287:12 ] ] ]
	v_max3_f32 v16, v16, v105, v106
.Ltmp393:
	.loc	1 78 63                         ; attention_aot.py:78:63 @[ attention_aot.py:287:12 ]
	v_cndmask_b32_e64 v107, 0, v61, s[0:1]
	.loc	1 71 39                         ; attention_aot.py:71:39 @[ attention_aot.py:287:12 ]
	v_cmp_lt_i32_e64 s[0:1], v50, v111
	.loc	1 78 45                         ; attention_aot.py:78:45 @[ attention_aot.py:287:12 ]
	v_fmac_f32_e32 v107, 0x3fb8aa3b, v40
	.loc	1 78 63 is_stmt 0               ; attention_aot.py:78:63 @[ attention_aot.py:287:12 ]
	s_nop 0
	v_cndmask_b32_e64 v108, 0, v61, s[0:1]
	.loc	1 71 39 is_stmt 1               ; attention_aot.py:71:39 @[ attention_aot.py:287:12 ]
	v_cmp_lt_i32_e64 s[0:1], v50, v114
	.loc	1 78 45                         ; attention_aot.py:78:45 @[ attention_aot.py:287:12 ]
	v_fmac_f32_e32 v108, 0x3fb8aa3b, v41
.Ltmp394:
	.loc	2 170 27                        ; standard.py:170:27 @[ standard.py:191:40 @[ attention_aot.py:80:46 @[ attention_aot.py:287:12 ] ] ]
	v_max3_f32 v16, v16, v107, v108
.Ltmp395:
	.loc	1 78 63                         ; attention_aot.py:78:63 @[ attention_aot.py:287:12 ]
	v_cndmask_b32_e64 v109, 0, v61, s[0:1]
	.loc	1 71 39                         ; attention_aot.py:71:39 @[ attention_aot.py:287:12 ]
	v_cmp_lt_i32_e64 s[0:1], v50, v115
	.loc	1 78 45                         ; attention_aot.py:78:45 @[ attention_aot.py:287:12 ]
	v_fmac_f32_e32 v109, 0x3fb8aa3b, v42
	.loc	1 78 63 is_stmt 0               ; attention_aot.py:78:63 @[ attention_aot.py:287:12 ]
	s_nop 0
	v_cndmask_b32_e64 v110, 0, v61, s[0:1]
	.loc	1 71 39 is_stmt 1               ; attention_aot.py:71:39 @[ attention_aot.py:287:12 ]
	v_cmp_lt_i32_e64 s[0:1], v50, v116
	.loc	1 78 45                         ; attention_aot.py:78:45 @[ attention_aot.py:287:12 ]
	v_fmac_f32_e32 v110, 0x3fb8aa3b, v43
.Ltmp396:
	.loc	2 170 27                        ; standard.py:170:27 @[ standard.py:191:40 @[ attention_aot.py:80:46 @[ attention_aot.py:287:12 ] ] ]
	v_max3_f32 v16, v16, v109, v110
.Ltmp397:
	.loc	1 78 63                         ; attention_aot.py:78:63 @[ attention_aot.py:287:12 ]
	v_cndmask_b32_e64 v111, 0, v61, s[0:1]
	.loc	1 71 39                         ; attention_aot.py:71:39 @[ attention_aot.py:287:12 ]
	v_cmp_lt_i32_e64 s[0:1], v50, v117
	.loc	1 78 45                         ; attention_aot.py:78:45 @[ attention_aot.py:287:12 ]
	v_fmac_f32_e32 v111, 0x3fb8aa3b, v44
	.loc	1 78 63 is_stmt 0               ; attention_aot.py:78:63 @[ attention_aot.py:287:12 ]
	s_nop 0
	v_cndmask_b32_e64 v114, 0, v61, s[0:1]
	.loc	1 71 39 is_stmt 1               ; attention_aot.py:71:39 @[ attention_aot.py:287:12 ]
	v_cmp_lt_i32_e64 s[0:1], v50, v118
	.loc	1 78 45                         ; attention_aot.py:78:45 @[ attention_aot.py:287:12 ]
	v_fmac_f32_e32 v114, 0x3fb8aa3b, v45
.Ltmp398:
	.loc	2 170 27                        ; standard.py:170:27 @[ standard.py:191:40 @[ attention_aot.py:80:46 @[ attention_aot.py:287:12 ] ] ]
	v_max3_f32 v16, v16, v111, v114
.Ltmp399:
	.loc	1 78 63                         ; attention_aot.py:78:63 @[ attention_aot.py:287:12 ]
	v_cndmask_b32_e64 v115, 0, v61, s[0:1]
	.loc	1 71 39                         ; attention_aot.py:71:39 @[ attention_aot.py:287:12 ]
	v_cmp_lt_i32_e64 s[0:1], v50, v119
	.loc	1 78 45                         ; attention_aot.py:78:45 @[ attention_aot.py:287:12 ]
	v_fmac_f32_e32 v115, 0x3fb8aa3b, v46
	.loc	1 78 63 is_stmt 0               ; attention_aot.py:78:63 @[ attention_aot.py:287:12 ]
	s_nop 0
	v_cndmask_b32_e64 v50, 0, v61, s[0:1]
	.loc	1 78 45                         ; attention_aot.py:78:45 @[ attention_aot.py:287:12 ]
	v_fmac_f32_e32 v50, 0x3fb8aa3b, v47
.Ltmp400:
	.loc	2 170 27 is_stmt 1              ; standard.py:170:27 @[ standard.py:191:40 @[ attention_aot.py:80:46 @[ attention_aot.py:287:12 ] ] ]
	v_max3_f32 v16, v16, v115, v50
.Ltmp401:
	.loc	2 191 40                        ; standard.py:191:40 @[ attention_aot.py:80:46 @[ attention_aot.py:287:12 ] ]
	v_mov_b32_e32 v17, v16
	s_nop 1
	v_permlane32_swap_b32_e32 v16, v17
.Ltmp402:
	.loc	1 80 35                         ; attention_aot.py:80:35 @[ attention_aot.py:287:12 ]
	v_max3_f32 v18, v57, v16, v17
	.loc	1 81 18                         ; attention_aot.py:81:18 @[ attention_aot.py:287:12 ]
	v_sub_f32_e32 v16, v52, v18
	v_sub_f32_e32 v17, v54, v18
	;; [unrolled: 1-line block ×3, first 2 shown]
	.loc	1 89 25                         ; attention_aot.py:89:25 @[ attention_aot.py:287:12 ]
	v_exp_f32_e32 v52, v16
	v_exp_f32_e32 v17, v17
	.loc	1 81 18                         ; attention_aot.py:81:18 @[ attention_aot.py:287:12 ]
	v_sub_f32_e32 v20, v56, v18
	.loc	1 89 25                         ; attention_aot.py:89:25 @[ attention_aot.py:287:12 ]
	v_exp_f32_e32 v19, v19
	.loc	1 81 18                         ; attention_aot.py:81:18 @[ attention_aot.py:287:12 ]
	v_sub_f32_e32 v21, v58, v18
	.loc	1 89 25                         ; attention_aot.py:89:25 @[ attention_aot.py:287:12 ]
	;; [unrolled: 4-line block ×4, first 2 shown]
	v_exp_f32_e32 v22, v22
.Ltmp403:
	.loc	2 263 15                        ; standard.py:263:15 @[ standard.py:293:36 @[ attention_aot.py:90:25 @[ attention_aot.py:287:12 ] ] ]
	v_add_f32_e32 v16, v52, v17
.Ltmp404:
	.loc	1 81 18                         ; attention_aot.py:81:18 @[ attention_aot.py:287:12 ]
	v_sub_f32_e32 v24, v78, v18
	.loc	1 89 25                         ; attention_aot.py:89:25 @[ attention_aot.py:287:12 ]
	v_exp_f32_e32 v23, v23
.Ltmp405:
	.loc	2 263 15                        ; standard.py:263:15 @[ standard.py:293:36 @[ attention_aot.py:90:25 @[ attention_aot.py:287:12 ] ] ]
	v_add_f32_e32 v16, v19, v16
.Ltmp406:
	.loc	1 81 18                         ; attention_aot.py:81:18 @[ attention_aot.py:287:12 ]
	v_sub_f32_e32 v25, v79, v18
	.loc	1 89 25                         ; attention_aot.py:89:25 @[ attention_aot.py:287:12 ]
	v_exp_f32_e32 v24, v24
.Ltmp407:
	.loc	2 263 15                        ; standard.py:263:15 @[ standard.py:293:36 @[ attention_aot.py:90:25 @[ attention_aot.py:287:12 ] ] ]
	v_add_f32_e32 v16, v20, v16
.Ltmp408:
	.loc	1 81 18                         ; attention_aot.py:81:18 @[ attention_aot.py:287:12 ]
	v_sub_f32_e32 v26, v82, v18
	.loc	1 89 25                         ; attention_aot.py:89:25 @[ attention_aot.py:287:12 ]
	v_exp_f32_e32 v25, v25
.Ltmp409:
	.loc	2 263 15                        ; standard.py:263:15 @[ standard.py:293:36 @[ attention_aot.py:90:25 @[ attention_aot.py:287:12 ] ] ]
	v_add_f32_e32 v16, v21, v16
.Ltmp410:
	.loc	1 81 18                         ; attention_aot.py:81:18 @[ attention_aot.py:287:12 ]
	v_sub_f32_e32 v27, v83, v18
	.loc	1 89 25                         ; attention_aot.py:89:25 @[ attention_aot.py:287:12 ]
	v_exp_f32_e32 v26, v26
.Ltmp411:
	.loc	2 263 15                        ; standard.py:263:15 @[ standard.py:293:36 @[ attention_aot.py:90:25 @[ attention_aot.py:287:12 ] ] ]
	v_add_f32_e32 v16, v22, v16
.Ltmp412:
	.loc	1 81 18                         ; attention_aot.py:81:18 @[ attention_aot.py:287:12 ]
	v_sub_f32_e32 v28, v86, v18
	.loc	1 89 25                         ; attention_aot.py:89:25 @[ attention_aot.py:287:12 ]
	v_exp_f32_e32 v27, v27
.Ltmp413:
	.loc	2 263 15                        ; standard.py:263:15 @[ standard.py:293:36 @[ attention_aot.py:90:25 @[ attention_aot.py:287:12 ] ] ]
	v_add_f32_e32 v16, v23, v16
.Ltmp414:
	.loc	1 81 18                         ; attention_aot.py:81:18 @[ attention_aot.py:287:12 ]
	v_sub_f32_e32 v29, v87, v18
	.loc	1 89 25                         ; attention_aot.py:89:25 @[ attention_aot.py:287:12 ]
	v_exp_f32_e32 v28, v28
.Ltmp415:
	.loc	2 263 15                        ; standard.py:263:15 @[ standard.py:293:36 @[ attention_aot.py:90:25 @[ attention_aot.py:287:12 ] ] ]
	v_add_f32_e32 v16, v24, v16
.Ltmp416:
	.loc	1 81 18                         ; attention_aot.py:81:18 @[ attention_aot.py:287:12 ]
	v_sub_f32_e32 v30, v98, v18
	.loc	1 89 25                         ; attention_aot.py:89:25 @[ attention_aot.py:287:12 ]
	v_exp_f32_e32 v29, v29
.Ltmp417:
	.loc	2 263 15                        ; standard.py:263:15 @[ standard.py:293:36 @[ attention_aot.py:90:25 @[ attention_aot.py:287:12 ] ] ]
	v_add_f32_e32 v16, v25, v16
.Ltmp418:
	.loc	1 81 18                         ; attention_aot.py:81:18 @[ attention_aot.py:287:12 ]
	v_sub_f32_e32 v31, v99, v18
	.loc	1 89 25                         ; attention_aot.py:89:25 @[ attention_aot.py:287:12 ]
	v_exp_f32_e32 v30, v30
.Ltmp419:
	.loc	2 263 15                        ; standard.py:263:15 @[ standard.py:293:36 @[ attention_aot.py:90:25 @[ attention_aot.py:287:12 ] ] ]
	v_add_f32_e32 v16, v26, v16
.Ltmp420:
	.loc	1 81 18                         ; attention_aot.py:81:18 @[ attention_aot.py:287:12 ]
	v_sub_f32_e32 v32, v100, v18
	.loc	1 89 25                         ; attention_aot.py:89:25 @[ attention_aot.py:287:12 ]
	v_exp_f32_e32 v31, v31
.Ltmp421:
	.loc	2 263 15                        ; standard.py:263:15 @[ standard.py:293:36 @[ attention_aot.py:90:25 @[ attention_aot.py:287:12 ] ] ]
	v_add_f32_e32 v16, v27, v16
.Ltmp422:
	.loc	1 81 18                         ; attention_aot.py:81:18 @[ attention_aot.py:287:12 ]
	v_sub_f32_e32 v33, v101, v18
	.loc	1 89 25                         ; attention_aot.py:89:25 @[ attention_aot.py:287:12 ]
	v_exp_f32_e32 v32, v32
.Ltmp423:
	.loc	2 263 15                        ; standard.py:263:15 @[ standard.py:293:36 @[ attention_aot.py:90:25 @[ attention_aot.py:287:12 ] ] ]
	v_add_f32_e32 v16, v28, v16
.Ltmp424:
	.loc	1 81 18                         ; attention_aot.py:81:18 @[ attention_aot.py:287:12 ]
	v_sub_f32_e32 v34, v102, v18
	.loc	1 89 25                         ; attention_aot.py:89:25 @[ attention_aot.py:287:12 ]
	v_exp_f32_e32 v33, v33
.Ltmp425:
	.loc	2 263 15                        ; standard.py:263:15 @[ standard.py:293:36 @[ attention_aot.py:90:25 @[ attention_aot.py:287:12 ] ] ]
	v_add_f32_e32 v16, v29, v16
.Ltmp426:
	.loc	1 81 18                         ; attention_aot.py:81:18 @[ attention_aot.py:287:12 ]
	v_sub_f32_e32 v35, v84, v18
	.loc	1 89 25                         ; attention_aot.py:89:25 @[ attention_aot.py:287:12 ]
	v_exp_f32_e32 v34, v34
.Ltmp427:
	.loc	2 263 15                        ; standard.py:263:15 @[ standard.py:293:36 @[ attention_aot.py:90:25 @[ attention_aot.py:287:12 ] ] ]
	v_add_f32_e32 v16, v30, v16
.Ltmp428:
	.loc	1 81 18                         ; attention_aot.py:81:18 @[ attention_aot.py:287:12 ]
	v_sub_f32_e32 v36, v85, v18
	v_sub_f32_e32 v41, v107, v18
	.loc	1 89 25                         ; attention_aot.py:89:25 @[ attention_aot.py:287:12 ]
	v_exp_f32_e32 v35, v35
.Ltmp429:
	.loc	2 263 15                        ; standard.py:263:15 @[ standard.py:293:36 @[ attention_aot.py:90:25 @[ attention_aot.py:287:12 ] ] ]
	v_add_f32_e32 v16, v31, v16
.Ltmp430:
	.loc	1 81 18                         ; attention_aot.py:81:18 @[ attention_aot.py:287:12 ]
	v_sub_f32_e32 v37, v103, v18
	.loc	1 89 25                         ; attention_aot.py:89:25 @[ attention_aot.py:287:12 ]
	v_exp_f32_e32 v36, v36
	v_exp_f32_e32 v41, v41
.Ltmp431:
	.loc	2 263 15                        ; standard.py:263:15 @[ standard.py:293:36 @[ attention_aot.py:90:25 @[ attention_aot.py:287:12 ] ] ]
	v_add_f32_e32 v16, v32, v16
.Ltmp432:
	.loc	1 92 35                         ; attention_aot.py:92:35 @[ attention_aot.py:287:12 ]
	v_sub_f32_e32 v54, v57, v18
	.loc	1 89 25                         ; attention_aot.py:89:25 @[ attention_aot.py:287:12 ]
	v_exp_f32_e32 v37, v37
.Ltmp433:
	.loc	2 263 15                        ; standard.py:263:15 @[ standard.py:293:36 @[ attention_aot.py:90:25 @[ attention_aot.py:287:12 ] ] ]
	v_add_f32_e32 v16, v33, v16
.Ltmp434:
	.loc	1 92 29                         ; attention_aot.py:92:29 @[ attention_aot.py:287:12 ]
	v_exp_f32_e32 v54, v54
	.loc	1 102 21                        ; attention_aot.py:102:21 @[ attention_aot.py:287:12 ]
	v_cvt_f16_f32_e32 v52, v52
	.loc	1 81 18                         ; attention_aot.py:81:18 @[ attention_aot.py:287:12 ]
	v_sub_f32_e32 v42, v108, v18
.Ltmp435:
	.loc	2 263 15                        ; standard.py:263:15 @[ standard.py:293:36 @[ attention_aot.py:90:25 @[ attention_aot.py:287:12 ] ] ]
	v_add_f32_e32 v16, v34, v16
.Ltmp436:
	.loc	1 102 21                        ; attention_aot.py:102:21 @[ attention_aot.py:287:12 ]
	v_cvt_f16_f32_e32 v25, v25
	.loc	1 89 25                         ; attention_aot.py:89:25 @[ attention_aot.py:287:12 ]
	v_exp_f32_e32 v42, v42
.Ltmp437:
	.loc	2 263 15                        ; standard.py:263:15 @[ standard.py:293:36 @[ attention_aot.py:90:25 @[ attention_aot.py:287:12 ] ] ]
	v_add_f32_e32 v16, v35, v16
.Ltmp438:
	.loc	1 102 21                        ; attention_aot.py:102:21 @[ attention_aot.py:287:12 ]
	v_cvt_f16_f32_e32 v33, v33
.Ltmp439:
	.loc	2 263 15                        ; standard.py:263:15 @[ standard.py:293:36 @[ attention_aot.py:90:25 @[ attention_aot.py:287:12 ] ] ]
	v_add_f32_e32 v16, v36, v16
.Ltmp440:
	.loc	1 102 21                        ; attention_aot.py:102:21 @[ attention_aot.py:287:12 ]
	v_cvt_f16_f32_e32 v56, v41
	v_cvt_f16_f32_e32 v17, v17
.Ltmp441:
	.loc	2 263 15                        ; standard.py:263:15 @[ standard.py:293:36 @[ attention_aot.py:90:25 @[ attention_aot.py:287:12 ] ] ]
	v_add_f32_e32 v55, v37, v16
.Ltmp442:
	.loc	1 95 20                         ; attention_aot.py:95:20 @[ attention_aot.py:287:12 ]
	ds_write_b32 v80, v54
	s_waitcnt lgkmcnt(0)
	s_barrier
	ds_read_b32 v16, v81
	.loc	1 102 21                        ; attention_aot.py:102:21 @[ attention_aot.py:287:12 ]
	s_waitcnt lgkmcnt(0)
	s_barrier
	ds_write_b16 v88, v52
	ds_write_b16 v88, v25 offset:4096
	ds_write_b16 v88, v33 offset:8192
	ds_write_b16 v88, v56 offset:12288
	v_cvt_f16_f32_e32 v25, v26
	.loc	1 81 18                         ; attention_aot.py:81:18 @[ attention_aot.py:287:12 ]
	v_sub_f32_e32 v43, v109, v18
	.loc	1 102 21                        ; attention_aot.py:102:21 @[ attention_aot.py:287:12 ]
	v_cvt_f16_f32_e32 v26, v34
	.loc	1 89 25                         ; attention_aot.py:89:25 @[ attention_aot.py:287:12 ]
	v_exp_f32_e32 v43, v43
	.loc	1 102 21                        ; attention_aot.py:102:21 @[ attention_aot.py:287:12 ]
	v_cvt_f16_f32_e32 v33, v42
	ds_write_b16 v89, v17 offset:256
	ds_write_b16 v89, v25 offset:4352
	ds_write_b16 v89, v26 offset:8448
	ds_write_b16 v89, v33 offset:12544
	v_cvt_f16_f32_e32 v17, v19
	v_cvt_f16_f32_e32 v19, v27
	.loc	1 81 18                         ; attention_aot.py:81:18 @[ attention_aot.py:287:12 ]
	v_sub_f32_e32 v44, v110, v18
	.loc	1 102 21                        ; attention_aot.py:102:21 @[ attention_aot.py:287:12 ]
	v_cvt_f16_f32_e32 v25, v35
	.loc	1 89 25                         ; attention_aot.py:89:25 @[ attention_aot.py:287:12 ]
	v_exp_f32_e32 v44, v44
	.loc	1 102 21                        ; attention_aot.py:102:21 @[ attention_aot.py:287:12 ]
	v_cvt_f16_f32_e32 v26, v43
	ds_write_b16 v90, v17 offset:512
	ds_write_b16 v90, v19 offset:4608
	ds_write_b16 v90, v25 offset:8704
	ds_write_b16 v90, v26 offset:12800
	v_cvt_f16_f32_e32 v17, v20
	;; [unrolled: 14-line block ×3, first 2 shown]
	.loc	1 81 18                         ; attention_aot.py:81:18 @[ attention_aot.py:287:12 ]
	v_sub_f32_e32 v38, v104, v18
	.loc	1 102 21                        ; attention_aot.py:102:21 @[ attention_aot.py:287:12 ]
	v_cvt_f16_f32_e32 v19, v29
	.loc	1 81 18                         ; attention_aot.py:81:18 @[ attention_aot.py:287:12 ]
	v_sub_f32_e32 v46, v114, v18
	.loc	1 89 25                         ; attention_aot.py:89:25 @[ attention_aot.py:287:12 ]
	v_exp_f32_e32 v38, v38
	.loc	1 102 21                        ; attention_aot.py:102:21 @[ attention_aot.py:287:12 ]
	v_cvt_f16_f32_e32 v20, v37
	.loc	1 89 25                         ; attention_aot.py:89:25 @[ attention_aot.py:287:12 ]
	v_exp_f32_e32 v46, v46
	.loc	1 102 21                        ; attention_aot.py:102:21 @[ attention_aot.py:287:12 ]
	v_cvt_f16_f32_e32 v21, v45
	ds_write_b16 v92, v17 offset:2048
	ds_write_b16 v92, v19 offset:6144
	ds_write_b16 v92, v20 offset:10240
	ds_write_b16 v92, v21 offset:14336
	v_cvt_f16_f32_e32 v17, v22
	.loc	1 81 18                         ; attention_aot.py:81:18 @[ attention_aot.py:287:12 ]
	v_sub_f32_e32 v39, v105, v18
	.loc	1 102 21                        ; attention_aot.py:102:21 @[ attention_aot.py:287:12 ]
	v_cvt_f16_f32_e32 v19, v30
	.loc	1 81 18                         ; attention_aot.py:81:18 @[ attention_aot.py:287:12 ]
	v_sub_f32_e32 v47, v115, v18
	.loc	1 89 25                         ; attention_aot.py:89:25 @[ attention_aot.py:287:12 ]
	v_exp_f32_e32 v39, v39
	.loc	1 102 21                        ; attention_aot.py:102:21 @[ attention_aot.py:287:12 ]
	v_cvt_f16_f32_e32 v20, v38
	.loc	1 89 25                         ; attention_aot.py:89:25 @[ attention_aot.py:287:12 ]
	v_exp_f32_e32 v47, v47
	.loc	1 102 21                        ; attention_aot.py:102:21 @[ attention_aot.py:287:12 ]
	v_cvt_f16_f32_e32 v21, v46
	ds_write_b16 v93, v17 offset:2304
	ds_write_b16 v93, v19 offset:6400
	ds_write_b16 v93, v20 offset:10496
	ds_write_b16 v93, v21 offset:14592
	v_cvt_f16_f32_e32 v17, v23
	;; [unrolled: 19-line block ×3, first 2 shown]
	v_cvt_f16_f32_e32 v19, v32
	v_cvt_f16_f32_e32 v20, v40
	;; [unrolled: 1-line block ×3, first 2 shown]
	ds_write_b16 v95, v17 offset:2816
	ds_write_b16 v95, v19 offset:6912
	;; [unrolled: 1-line block ×4, first 2 shown]
	s_waitcnt lgkmcnt(0)
	s_barrier
	ds_read_b64_tr_b16 v[20:21], v96
	ds_read_b64_tr_b16 v[24:25], v96 offset:4096
	ds_read_b64_tr_b16 v[28:29], v96 offset:8192
	;; [unrolled: 1-line block ×7, first 2 shown]
	.loc	1 104 31                        ; attention_aot.py:104:31 @[ attention_aot.py:287:12 ]
	v_pk_mul_f32 v[14:15], v[14:15], v[16:17] op_sel_hi:[1,0]
	v_pk_mul_f32 v[12:13], v[12:13], v[16:17] op_sel_hi:[1,0]
	;; [unrolled: 1-line block ×8, first 2 shown]
.Ltmp443:
	.loc	2 263 15                        ; standard.py:263:15 @[ standard.py:293:36 @[ attention_aot.py:90:25 @[ attention_aot.py:287:12 ] ] ]
	v_add_f32_e32 v16, v38, v55
	v_add_f32_e32 v16, v39, v16
.Ltmp444:
	.loc	1 104 31                        ; attention_aot.py:104:31 @[ attention_aot.py:287:12 ]
	s_waitcnt lgkmcnt(3)
	v_mfma_f32_32x32x16_f16 v[0:15], v[74:77], v[20:23], v[0:15]
.Ltmp445:
	.loc	2 263 15                        ; standard.py:263:15 @[ standard.py:293:36 @[ attention_aot.py:90:25 @[ attention_aot.py:287:12 ] ] ]
	v_add_f32_e32 v16, v40, v16
	v_add_f32_e32 v16, v41, v16
	;; [unrolled: 1-line block ×7, first 2 shown]
.Ltmp446:
	.loc	1 104 31                        ; attention_aot.py:104:31 @[ attention_aot.py:287:12 ]
	s_waitcnt lgkmcnt(2)
	v_mfma_f32_32x32x16_f16 v[0:15], v[70:73], v[24:27], v[0:15]
.Ltmp447:
	.loc	2 263 15                        ; standard.py:263:15 @[ standard.py:293:36 @[ attention_aot.py:90:25 @[ attention_aot.py:287:12 ] ] ]
	v_add_f32_e32 v16, v47, v16
	v_add_f32_e32 v50, v50, v16
.Ltmp448:
	.loc	2 293 36                        ; standard.py:293:36 @[ attention_aot.py:90:25 @[ attention_aot.py:287:12 ] ]
	v_mov_b32_e32 v52, v50
	s_nop 1
	v_permlane32_swap_b32_e32 v50, v52
.Ltmp449:
	.loc	2 263 15                        ; standard.py:263:15 @[ standard.py:293:36 @[ attention_aot.py:90:25 @[ attention_aot.py:287:12 ] ] ]
	v_pk_add_f32 v[16:17], v[50:51], v[52:53]
	s_mov_b32 s0, 0x800000
.Ltmp450:
	.loc	1 104 31                        ; attention_aot.py:104:31 @[ attention_aot.py:287:12 ]
	s_waitcnt lgkmcnt(1)
	v_mfma_f32_32x32x16_f16 v[0:15], v[66:69], v[28:31], v[0:15]
	.loc	1 93 28                         ; attention_aot.py:93:28 @[ attention_aot.py:287:12 ]
	v_fmac_f32_e32 v16, v17, v54
.Ltmp451:
	.loc	1 290 24                        ; attention_aot.py:290:24
	v_cmp_gt_f32_e64 s[0:1], s0, v16
	.loc	1 291 16                        ; attention_aot.py:291:16
	s_waitcnt lgkmcnt(0)
	s_barrier
	.loc	1 290 24                        ; attention_aot.py:290:24
	v_cndmask_b32_e64 v17, 0, 32, s[0:1]
	v_ldexp_f32 v17, v16, v17
	v_log_f32_e32 v17, v17
.Ltmp452:
	.loc	1 104 31                        ; attention_aot.py:104:31 @[ attention_aot.py:287:12 ]
	v_mfma_f32_32x32x16_f16 v[0:15], v[62:65], v[32:35], v[0:15]
.Ltmp453:
	.loc	1 291 16                        ; attention_aot.py:291:16
	ds_write_b32 v80, v16
	s_waitcnt lgkmcnt(0)
	s_barrier
	ds_read_b32 v16, v81
	.loc	1 290 24                        ; attention_aot.py:290:24
	v_mov_b32_e32 v19, 0x42000000
	v_cndmask_b32_e64 v19, 0, v19, s[0:1]
	.loc	1 293 21                        ; attention_aot.py:293:21
	s_and_b32 s0, s11, 0x180
	.loc	1 290 24                        ; attention_aot.py:290:24
	v_sub_f32_e32 v17, v17, v19
	.loc	1 293 21                        ; attention_aot.py:293:21
	s_cselect_b64 s[0:1], 0, -1
	.loc	1 290 11                        ; attention_aot.py:290:11
	v_add_f32_e32 v17, v18, v17
	.loc	1 293 21                        ; attention_aot.py:293:21
	s_and_b64 s[2:3], s[0:1], vcc
	s_waitcnt lgkmcnt(0)
	s_barrier
	ds_write_b32 v80, v17
	s_waitcnt lgkmcnt(0)
	s_barrier
	s_and_saveexec_b64 s[0:1], s[2:3]
	s_cbranch_execz .LBB0_228
; %bb.227:
	v_lshl_add_u32 v17, v49, 2, 0
	.loc	1 292 26                        ; attention_aot.py:292:26
	s_mul_i32 s2, s9, s17
	.loc	1 292 17 is_stmt 0              ; attention_aot.py:292:17
	s_ashr_i32 s3, s2, 31
	.loc	1 293 21 is_stmt 1              ; attention_aot.py:293:21
	ds_read_b32 v17, v17
	.loc	1 292 17                        ; attention_aot.py:292:17
	s_lshl_b64 s[2:3], s[2:3], 2
	s_add_u32 s2, s12, s2
	s_addc_u32 s3, s13, s3
	.loc	1 292 34 is_stmt 0              ; attention_aot.py:292:34
	v_ashrrev_i32_e32 v49, 31, v48
	v_lshl_add_u64 v[18:19], v[48:49], 2, s[2:3]
	.loc	1 293 21 is_stmt 1              ; attention_aot.py:293:21
	s_waitcnt lgkmcnt(0)
	global_store_dword v[18:19], v17, off
.LBB0_228:
	.loc	1 0 21 is_stmt 0                ; attention_aot.py:0:21
	s_or_b64 exec, exec, s[0:1]
	.loc	1 291 16 is_stmt 1              ; attention_aot.py:291:16
	v_div_scale_f32 v17, s[0:1], v16, v16, v0
	v_rcp_f32_e32 v18, v17
	v_div_scale_f32 v19, vcc, v0, v16, v0
	v_fma_f32 v20, -v17, v18, 1.0
	v_fmac_f32_e32 v18, v20, v18
	v_mul_f32_e32 v20, v19, v18
	v_fma_f32 v21, -v17, v20, v19
	v_fmac_f32_e32 v20, v21, v18
	v_fma_f32 v17, -v17, v20, v19
	v_div_scale_f32 v19, s[0:1], v16, v16, v1
	v_rcp_f32_e32 v21, v19
	v_div_fmas_f32 v17, v17, v18, v20
	v_div_fixup_f32 v0, v17, v16, v0
	v_fma_f32 v17, -v19, v21, 1.0
	v_fmac_f32_e32 v21, v17, v21
	v_div_scale_f32 v17, vcc, v1, v16, v1
	v_mul_f32_e32 v18, v17, v21
	v_fma_f32 v20, -v19, v18, v17
	v_fmac_f32_e32 v18, v20, v21
	v_fma_f32 v17, -v19, v18, v17
	v_div_scale_f32 v19, s[0:1], v16, v16, v2
	v_rcp_f32_e32 v20, v19
	v_div_fmas_f32 v17, v17, v21, v18
	v_div_fixup_f32 v1, v17, v16, v1
	v_fma_f32 v17, -v19, v20, 1.0
	v_fmac_f32_e32 v20, v17, v20
	v_div_scale_f32 v17, vcc, v2, v16, v2
	;; [unrolled: 11-line block ×5, first 2 shown]
	v_mul_f32_e32 v18, v17, v21
	v_fma_f32 v20, -v19, v18, v17
	v_fmac_f32_e32 v18, v20, v21
	v_fma_f32 v17, -v19, v18, v17
	v_div_scale_f32 v19, s[0:1], v16, v16, v6
	v_rcp_f32_e32 v20, v19
	v_div_fmas_f32 v17, v17, v21, v18
	v_div_fixup_f32 v5, v17, v16, v5
	.loc	1 294 33                        ; attention_aot.py:294:33
	v_cvt_pk_f16_f32 v5, v4, v5
	.loc	1 291 16                        ; attention_aot.py:291:16
	v_fma_f32 v17, -v19, v20, 1.0
	v_fmac_f32_e32 v20, v17, v20
	v_div_scale_f32 v17, vcc, v6, v16, v6
	v_mul_f32_e32 v18, v17, v20
	v_fma_f32 v21, -v19, v18, v17
	v_fmac_f32_e32 v18, v21, v20
	v_fma_f32 v17, -v19, v18, v17
	v_div_scale_f32 v19, s[0:1], v16, v16, v7
	v_rcp_f32_e32 v21, v19
	v_div_fmas_f32 v17, v17, v20, v18
	v_div_fixup_f32 v17, v17, v16, v6
	v_fma_f32 v6, -v19, v21, 1.0
	v_fmac_f32_e32 v21, v6, v21
	v_div_scale_f32 v6, vcc, v7, v16, v7
	v_mul_f32_e32 v18, v6, v21
	v_fma_f32 v20, -v19, v18, v6
	v_fmac_f32_e32 v18, v20, v21
	v_fma_f32 v6, -v19, v18, v6
	v_div_scale_f32 v19, s[0:1], v16, v16, v8
	v_rcp_f32_e32 v20, v19
	v_div_fmas_f32 v6, v6, v21, v18
	v_div_fixup_f32 v18, v6, v16, v7
	.loc	1 294 33                        ; attention_aot.py:294:33
	v_cvt_pk_f16_f32 v4, v17, v18
	.loc	1 291 16                        ; attention_aot.py:291:16
	v_fma_f32 v6, -v19, v20, 1.0
	v_fmac_f32_e32 v20, v6, v20
	v_div_scale_f32 v6, vcc, v8, v16, v8
	v_mul_f32_e32 v7, v6, v20
	v_fma_f32 v21, -v19, v7, v6
	v_fmac_f32_e32 v7, v21, v20
	v_fma_f32 v6, -v19, v7, v6
	v_div_scale_f32 v19, s[0:1], v16, v16, v9
	v_rcp_f32_e32 v21, v19
	v_div_fmas_f32 v6, v6, v20, v7
	v_div_fixup_f32 v20, v6, v16, v8
	v_fma_f32 v6, -v19, v21, 1.0
	v_fmac_f32_e32 v21, v6, v21
	v_div_scale_f32 v6, vcc, v9, v16, v9
	v_mul_f32_e32 v7, v6, v21
	v_fma_f32 v8, -v19, v7, v6
	v_fmac_f32_e32 v7, v8, v21
	v_div_scale_f32 v8, s[0:1], v16, v16, v10
	v_fma_f32 v6, -v19, v7, v6
	v_rcp_f32_e32 v19, v8
	v_div_fmas_f32 v6, v6, v21, v7
	v_div_fixup_f32 v9, v6, v16, v9
	v_fma_f32 v6, -v8, v19, 1.0
	v_fmac_f32_e32 v19, v6, v19
	v_div_scale_f32 v6, vcc, v10, v16, v10
	v_mul_f32_e32 v7, v6, v19
	v_fma_f32 v21, -v8, v7, v6
	v_fmac_f32_e32 v7, v21, v19
	v_fma_f32 v6, -v8, v7, v6
	v_div_scale_f32 v8, s[0:1], v16, v16, v11
	v_rcp_f32_e32 v21, v8
	v_div_fmas_f32 v6, v6, v19, v7
	v_div_fixup_f32 v10, v6, v16, v10
	v_fma_f32 v6, -v8, v21, 1.0
	v_fmac_f32_e32 v21, v6, v21
	v_div_scale_f32 v6, vcc, v11, v16, v11
	v_mul_f32_e32 v7, v6, v21
	v_fma_f32 v19, -v8, v7, v6
	v_fmac_f32_e32 v7, v19, v21
	v_fma_f32 v6, -v8, v7, v6
	v_div_scale_f32 v8, s[0:1], v16, v16, v12
	;; [unrolled: 11-line block ×5, first 2 shown]
	v_rcp_f32_e32 v21, v8
	v_div_fmas_f32 v6, v6, v19, v7
	v_div_fixup_f32 v14, v6, v16, v14
	.loc	1 178 46                        ; attention_aot.py:178:46
	s_lshr_b32 s0, s65, 2
	.loc	1 291 16                        ; attention_aot.py:291:16
	v_fma_f32 v6, -v8, v21, 1.0
	v_fmac_f32_e32 v21, v6, v21
	v_div_scale_f32 v6, vcc, v15, v16, v15
	v_mul_f32_e32 v7, v6, v21
	v_fma_f32 v19, -v8, v7, v6
	v_fmac_f32_e32 v7, v19, v21
	v_fma_f32 v6, -v8, v7, v6
	v_div_fmas_f32 v6, v6, v21, v7
	v_div_fixup_f32 v15, v6, v16, v15
	.loc	1 178 33                        ; attention_aot.py:178:33
	v_or_b32_e32 v6, s0, v113
	v_or_b32_e32 v8, s16, v6
	.loc	1 294 33                        ; attention_aot.py:294:33
	v_cvt_pk_f16_f32 v7, v0, v1
	v_cvt_pk_f16_f32 v6, v2, v3
	;; [unrolled: 1-line block ×6, first 2 shown]
	.loc	1 179 27                        ; attention_aot.py:179:27
	v_cmp_gt_i32_e32 vcc, s9, v8
	.loc	1 294 33                        ; attention_aot.py:294:33
	v_permlane32_swap_b32_e32 v7, v5
	v_permlane32_swap_b32_e32 v6, v4
	;; [unrolled: 1-line block ×4, first 2 shown]
	.loc	1 294 26 is_stmt 0              ; attention_aot.py:294:26
	s_and_saveexec_b64 s[0:1], vcc
	s_cbranch_execz .LBB0_230
; %bb.229:                              ; %.critedge
	.loc	1 169 32 is_stmt 1              ; attention_aot.py:169:32
	s_mul_hi_i32 s1, s64, s4
	s_mul_i32 s0, s64, s4
	.loc	1 186 24                        ; attention_aot.py:186:24
	v_lshrrev_b32_e32 v9, 2, v112
	s_lshr_b32 s4, s11, 1
	.loc	1 217 10                        ; attention_aot.py:217:10
	s_lshl_b64 s[0:1], s[0:1], 1
	.loc	1 169 72                        ; attention_aot.py:169:72
	s_mul_hi_i32 s3, s33, s5
	s_mul_i32 s2, s33, s5
	.loc	1 186 24                        ; attention_aot.py:186:24
	v_and_or_b32 v10, s4, 32, v9
	.loc	1 217 10                        ; attention_aot.py:217:10
	s_add_u32 s4, s14, s0
	s_addc_u32 s5, s15, s1
	s_lshl_b64 s[0:1], s[2:3], 1
	s_add_u32 s0, s4, s0
	.loc	1 218 28                        ; attention_aot.py:218:28
	v_mul_lo_u32 v8, v8, s6
	.loc	1 186 24                        ; attention_aot.py:186:24
	v_or_b32_e32 v11, 1, v10
	v_or_b32_e32 v13, 2, v10
	;; [unrolled: 1-line block ×15, first 2 shown]
	.loc	1 217 10                        ; attention_aot.py:217:10
	s_addc_u32 s1, s5, s1
	.loc	1 218 10                        ; attention_aot.py:218:10
	v_ashrrev_i32_e32 v9, 31, v8
	.loc	1 219 35                        ; attention_aot.py:219:35
	v_mul_lo_u32 v10, v10, s7
	.loc	1 218 10                        ; attention_aot.py:218:10
	v_lshl_add_u64 v[8:9], v[8:9], 1, s[0:1]
	.loc	1 219 35                        ; attention_aot.py:219:35
	v_mul_lo_u32 v12, v11, s7
	v_mul_lo_u32 v14, v13, s7
	;; [unrolled: 1-line block ×15, first 2 shown]
	.loc	1 219 10 is_stmt 0              ; attention_aot.py:219:10
	v_ashrrev_i32_e32 v11, 31, v10
	v_lshl_add_u64 v[10:11], v[10:11], 1, v[8:9]
	v_ashrrev_i32_e32 v13, 31, v12
	v_ashrrev_i32_e32 v15, 31, v14
	;; [unrolled: 1-line block ×15, first 2 shown]
	v_lshl_add_u64 v[12:13], v[12:13], 1, v[8:9]
	v_lshl_add_u64 v[14:15], v[14:15], 1, v[8:9]
	;; [unrolled: 1-line block ×15, first 2 shown]
	.loc	1 294 26 is_stmt 1              ; attention_aot.py:294:26
	global_store_short v[10:11], v7, off
	global_store_short_d16_hi v[12:13], v7, off
	global_store_short v[14:15], v6, off
	global_store_short_d16_hi v[16:17], v6, off
	global_store_short v[18:19], v5, off
	global_store_short_d16_hi v[20:21], v5, off
	global_store_short v[22:23], v4, off
	global_store_short_d16_hi v[24:25], v4, off
	global_store_short v[26:27], v3, off
	global_store_short_d16_hi v[28:29], v3, off
	global_store_short v[30:31], v2, off
	global_store_short_d16_hi v[32:33], v2, off
	global_store_short v[34:35], v1, off
	global_store_short_d16_hi v[36:37], v1, off
	global_store_short v[38:39], v0, off
	global_store_short_d16_hi v[8:9], v0, off
.LBB0_230:                              ; %.critedge28
	.loc	1 294 4 is_stmt 0               ; attention_aot.py:294:4
	s_endpgm
.Ltmp454:
	.section	.rodata,"a",@progbits
	.p2align	6, 0x0
	.amdhsa_kernel _attn_fwd
		.amdhsa_group_segment_fixed_size 0
		.amdhsa_private_segment_fixed_size 100
		.amdhsa_kernarg_size 176
		.amdhsa_user_sgpr_count 16
		.amdhsa_user_sgpr_dispatch_ptr 0
		.amdhsa_user_sgpr_queue_ptr 0
		.amdhsa_user_sgpr_kernarg_segment_ptr 1
		.amdhsa_user_sgpr_dispatch_id 0
		.amdhsa_user_sgpr_kernarg_preload_length 14
		.amdhsa_user_sgpr_kernarg_preload_offset 0
		.amdhsa_user_sgpr_private_segment_size 0
		.amdhsa_uses_dynamic_stack 0
		.amdhsa_enable_private_segment 1
		.amdhsa_system_sgpr_workgroup_id_x 1
		.amdhsa_system_sgpr_workgroup_id_y 1
		.amdhsa_system_sgpr_workgroup_id_z 0
		.amdhsa_system_sgpr_workgroup_info 0
		.amdhsa_system_vgpr_workitem_id 0
		.amdhsa_next_free_vgpr 256
		.amdhsa_next_free_sgpr 86
		.amdhsa_accum_offset 256
		.amdhsa_reserve_vcc 1
		.amdhsa_reserve_xnack_mask 1
		.amdhsa_float_round_mode_32 0
		.amdhsa_float_round_mode_16_64 0
		.amdhsa_float_denorm_mode_32 3
		.amdhsa_float_denorm_mode_16_64 3
		.amdhsa_dx10_clamp 1
		.amdhsa_ieee_mode 1
		.amdhsa_fp16_overflow 0
		.amdhsa_tg_split 0
		.amdhsa_exception_fp_ieee_invalid_op 0
		.amdhsa_exception_fp_denorm_src 0
		.amdhsa_exception_fp_ieee_div_zero 0
		.amdhsa_exception_fp_ieee_overflow 0
		.amdhsa_exception_fp_ieee_underflow 0
		.amdhsa_exception_fp_ieee_inexact 0
		.amdhsa_exception_int_div_zero 0
	.end_amdhsa_kernel
	.text
.Lfunc_end0:
	.size	_attn_fwd, .Lfunc_end0-_attn_fwd
	.cfi_endproc
                                        ; -- End function
	.set _attn_fwd.num_vgpr, 256
	.set _attn_fwd.num_agpr, 0
	.set _attn_fwd.numbered_sgpr, 86
	.set _attn_fwd.num_named_barrier, 0
	.set _attn_fwd.private_seg_size, 100
	.set _attn_fwd.uses_vcc, 1
	.set _attn_fwd.uses_flat_scratch, 0
	.set _attn_fwd.has_dyn_sized_stack, 0
	.set _attn_fwd.has_recursion, 0
	.set _attn_fwd.has_indirect_call, 0
	.section	.AMDGPU.csdata,"",@progbits
; Kernel info:
; codeLenInByte = 22960
; TotalNumSgprs: 92
; NumVgprs: 256
; NumAgprs: 0
; TotalNumVgprs: 256
; ScratchSize: 100
; MemoryBound: 0
; FloatMode: 240
; IeeeMode: 1
; LDSByteSize: 0 bytes/workgroup (compile time only)
; SGPRBlocks: 11
; VGPRBlocks: 31
; NumSGPRsForWavesPerEU: 92
; NumVGPRsForWavesPerEU: 256
; AccumOffset: 256
; Occupancy: 2
; WaveLimiterHint : 0
; COMPUTE_PGM_RSRC2:SCRATCH_EN: 1
; COMPUTE_PGM_RSRC2:USER_SGPR: 16
; COMPUTE_PGM_RSRC2:TRAP_HANDLER: 0
; COMPUTE_PGM_RSRC2:TGID_X_EN: 1
; COMPUTE_PGM_RSRC2:TGID_Y_EN: 1
; COMPUTE_PGM_RSRC2:TGID_Z_EN: 0
; COMPUTE_PGM_RSRC2:TIDIG_COMP_CNT: 0
; COMPUTE_PGM_RSRC3_GFX90A:ACCUM_OFFSET: 63
; COMPUTE_PGM_RSRC3_GFX90A:TG_SPLIT: 0
	.text
	.p2alignl 6, 3212836864
	.fill 256, 4, 3212836864
	.section	.AMDGPU.gpr_maximums,"",@progbits
	.set amdgpu.max_num_vgpr, 0
	.set amdgpu.max_num_agpr, 0
	.set amdgpu.max_num_sgpr, 0
	.set amdgpu.max_num_named_barrier, 0
	.text
	.section	.debug_abbrev,"",@progbits
	.byte	1                               ; Abbreviation Code
	.byte	17                              ; DW_TAG_compile_unit
	.byte	1                               ; DW_CHILDREN_yes
	.byte	37                              ; DW_AT_producer
	.byte	14                              ; DW_FORM_strp
	.byte	19                              ; DW_AT_language
	.byte	5                               ; DW_FORM_data2
	.byte	3                               ; DW_AT_name
	.byte	14                              ; DW_FORM_strp
	.byte	16                              ; DW_AT_stmt_list
	.byte	23                              ; DW_FORM_sec_offset
	.byte	27                              ; DW_AT_comp_dir
	.byte	14                              ; DW_FORM_strp
	.byte	17                              ; DW_AT_low_pc
	.byte	1                               ; DW_FORM_addr
	.byte	18                              ; DW_AT_high_pc
	.byte	6                               ; DW_FORM_data4
	.byte	0                               ; EOM(1)
	.byte	0                               ; EOM(2)
	.byte	2                               ; Abbreviation Code
	.byte	46                              ; DW_TAG_subprogram
	.byte	0                               ; DW_CHILDREN_no
	.byte	3                               ; DW_AT_name
	.byte	14                              ; DW_FORM_strp
	.byte	32                              ; DW_AT_inline
	.byte	11                              ; DW_FORM_data1
	.byte	0                               ; EOM(1)
	.byte	0                               ; EOM(2)
	.byte	3                               ; Abbreviation Code
	.byte	46                              ; DW_TAG_subprogram
	.byte	1                               ; DW_CHILDREN_yes
	.byte	17                              ; DW_AT_low_pc
	.byte	1                               ; DW_FORM_addr
	.byte	18                              ; DW_AT_high_pc
	.byte	6                               ; DW_FORM_data4
	.byte	49                              ; DW_AT_abstract_origin
	.byte	19                              ; DW_FORM_ref4
	.byte	0                               ; EOM(1)
	.byte	0                               ; EOM(2)
	.byte	4                               ; Abbreviation Code
	.byte	29                              ; DW_TAG_inlined_subroutine
	.byte	1                               ; DW_CHILDREN_yes
	.byte	49                              ; DW_AT_abstract_origin
	.byte	19                              ; DW_FORM_ref4
	.byte	85                              ; DW_AT_ranges
	.byte	23                              ; DW_FORM_sec_offset
	.byte	88                              ; DW_AT_call_file
	.byte	11                              ; DW_FORM_data1
	.byte	89                              ; DW_AT_call_line
	.byte	5                               ; DW_FORM_data2
	.byte	87                              ; DW_AT_call_column
	.byte	11                              ; DW_FORM_data1
	.byte	0                               ; EOM(1)
	.byte	0                               ; EOM(2)
	.byte	5                               ; Abbreviation Code
	.byte	29                              ; DW_TAG_inlined_subroutine
	.byte	1                               ; DW_CHILDREN_yes
	.byte	49                              ; DW_AT_abstract_origin
	.byte	19                              ; DW_FORM_ref4
	.byte	85                              ; DW_AT_ranges
	.byte	23                              ; DW_FORM_sec_offset
	.byte	88                              ; DW_AT_call_file
	.byte	11                              ; DW_FORM_data1
	.byte	89                              ; DW_AT_call_line
	.byte	11                              ; DW_FORM_data1
	.byte	87                              ; DW_AT_call_column
	.byte	11                              ; DW_FORM_data1
	.byte	0                               ; EOM(1)
	.byte	0                               ; EOM(2)
	.byte	6                               ; Abbreviation Code
	.byte	29                              ; DW_TAG_inlined_subroutine
	.byte	0                               ; DW_CHILDREN_no
	.byte	49                              ; DW_AT_abstract_origin
	.byte	19                              ; DW_FORM_ref4
	.byte	85                              ; DW_AT_ranges
	.byte	23                              ; DW_FORM_sec_offset
	.byte	88                              ; DW_AT_call_file
	.byte	11                              ; DW_FORM_data1
	.byte	89                              ; DW_AT_call_line
	.byte	11                              ; DW_FORM_data1
	.byte	87                              ; DW_AT_call_column
	.byte	11                              ; DW_FORM_data1
	.byte	0                               ; EOM(1)
	.byte	0                               ; EOM(2)
	.byte	7                               ; Abbreviation Code
	.byte	29                              ; DW_TAG_inlined_subroutine
	.byte	0                               ; DW_CHILDREN_no
	.byte	49                              ; DW_AT_abstract_origin
	.byte	19                              ; DW_FORM_ref4
	.byte	85                              ; DW_AT_ranges
	.byte	23                              ; DW_FORM_sec_offset
	.byte	88                              ; DW_AT_call_file
	.byte	11                              ; DW_FORM_data1
	.byte	89                              ; DW_AT_call_line
	.byte	5                               ; DW_FORM_data2
	.byte	87                              ; DW_AT_call_column
	.byte	11                              ; DW_FORM_data1
	.byte	0                               ; EOM(1)
	.byte	0                               ; EOM(2)
	;; [unrolled: 1-line block ×3, first 2 shown]
	.section	.debug_info,"",@progbits
.Lcu_begin0:
	.long	.Ldebug_info_end0-.Ldebug_info_start0 ; Length of Unit
.Ldebug_info_start0:
	.short	4                               ; DWARF version number
	.long	.debug_abbrev                   ; Offset Into Abbrev. Section
	.byte	8                               ; Address Size (in bytes)
	.byte	1                               ; Abbrev [1] 0xb:0xba DW_TAG_compile_unit
	.long	.Linfo_string0                  ; DW_AT_producer
	.short	2                               ; DW_AT_language
	.long	.Linfo_string1                  ; DW_AT_name
	.long	.Lline_table_start0             ; DW_AT_stmt_list
	.long	.Linfo_string2                  ; DW_AT_comp_dir
	.quad	.Lfunc_begin0                   ; DW_AT_low_pc
	.long	.Lfunc_end0-.Lfunc_begin0       ; DW_AT_high_pc
	.byte	2                               ; Abbrev [2] 0x2a:0x6 DW_TAG_subprogram
	.long	.Linfo_string3                  ; DW_AT_name
	.byte	1                               ; DW_AT_inline
	.byte	3                               ; Abbrev [3] 0x30:0x94 DW_TAG_subprogram
	.quad	.Lfunc_begin0                   ; DW_AT_low_pc
	.long	.Lfunc_end0-.Lfunc_begin0       ; DW_AT_high_pc
	.long	42                              ; DW_AT_abstract_origin
	.byte	4                               ; Abbrev [4] 0x41:0x41 DW_TAG_inlined_subroutine
	.long	42                              ; DW_AT_abstract_origin
	.long	.Ldebug_ranges0                 ; DW_AT_ranges
	.byte	1                               ; DW_AT_call_file
	.short	258                             ; DW_AT_call_line
	.byte	12                              ; DW_AT_call_column
	.byte	5                               ; Abbrev [5] 0x4e:0x19 DW_TAG_inlined_subroutine
	.long	42                              ; DW_AT_abstract_origin
	.long	.Ldebug_ranges1                 ; DW_AT_ranges
	.byte	1                               ; DW_AT_call_file
	.byte	86                              ; DW_AT_call_line
	.byte	46                              ; DW_AT_call_column
	.byte	6                               ; Abbrev [6] 0x5a:0xc DW_TAG_inlined_subroutine
	.long	42                              ; DW_AT_abstract_origin
	.long	.Ldebug_ranges2                 ; DW_AT_ranges
	.byte	2                               ; DW_AT_call_file
	.byte	191                             ; DW_AT_call_line
	.byte	40                              ; DW_AT_call_column
	.byte	0                               ; End Of Children Mark
	.byte	5                               ; Abbrev [5] 0x67:0x1a DW_TAG_inlined_subroutine
	.long	42                              ; DW_AT_abstract_origin
	.long	.Ldebug_ranges3                 ; DW_AT_ranges
	.byte	1                               ; DW_AT_call_file
	.byte	90                              ; DW_AT_call_line
	.byte	25                              ; DW_AT_call_column
	.byte	7                               ; Abbrev [7] 0x73:0xd DW_TAG_inlined_subroutine
	.long	42                              ; DW_AT_abstract_origin
	.long	.Ldebug_ranges4                 ; DW_AT_ranges
	.byte	2                               ; DW_AT_call_file
	.short	293                             ; DW_AT_call_line
	.byte	36                              ; DW_AT_call_column
	.byte	0                               ; End Of Children Mark
	.byte	0                               ; End Of Children Mark
	.byte	4                               ; Abbrev [4] 0x82:0x41 DW_TAG_inlined_subroutine
	.long	42                              ; DW_AT_abstract_origin
	.long	.Ldebug_ranges5                 ; DW_AT_ranges
	.byte	1                               ; DW_AT_call_file
	.short	287                             ; DW_AT_call_line
	.byte	12                              ; DW_AT_call_column
	.byte	5                               ; Abbrev [5] 0x8f:0x19 DW_TAG_inlined_subroutine
	.long	42                              ; DW_AT_abstract_origin
	.long	.Ldebug_ranges6                 ; DW_AT_ranges
	.byte	1                               ; DW_AT_call_file
	.byte	80                              ; DW_AT_call_line
	.byte	46                              ; DW_AT_call_column
	.byte	6                               ; Abbrev [6] 0x9b:0xc DW_TAG_inlined_subroutine
	.long	42                              ; DW_AT_abstract_origin
	.long	.Ldebug_ranges7                 ; DW_AT_ranges
	.byte	2                               ; DW_AT_call_file
	.byte	191                             ; DW_AT_call_line
	.byte	40                              ; DW_AT_call_column
	.byte	0                               ; End Of Children Mark
	.byte	5                               ; Abbrev [5] 0xa8:0x1a DW_TAG_inlined_subroutine
	.long	42                              ; DW_AT_abstract_origin
	.long	.Ldebug_ranges8                 ; DW_AT_ranges
	.byte	1                               ; DW_AT_call_file
	.byte	90                              ; DW_AT_call_line
	.byte	25                              ; DW_AT_call_column
	.byte	7                               ; Abbrev [7] 0xb4:0xd DW_TAG_inlined_subroutine
	.long	42                              ; DW_AT_abstract_origin
	.long	.Ldebug_ranges9                 ; DW_AT_ranges
	.byte	2                               ; DW_AT_call_file
	.short	293                             ; DW_AT_call_line
	.byte	36                              ; DW_AT_call_column
	.byte	0                               ; End Of Children Mark
	.byte	0                               ; End Of Children Mark
	;; [unrolled: 1-line block ×4, first 2 shown]
.Ldebug_info_end0:
	.section	.debug_ranges,"",@progbits
.Ldebug_ranges0:
	.quad	.Ltmp2-.Lfunc_begin0
	.quad	.Ltmp3-.Lfunc_begin0
	;; [unrolled: 1-line block ×60, first 2 shown]
	.quad	0
	.quad	0
.Ldebug_ranges1:
	.quad	.Ltmp59-.Lfunc_begin0
	.quad	.Ltmp60-.Lfunc_begin0
	;; [unrolled: 1-line block ×88, first 2 shown]
	.quad	0
	.quad	0
.Ldebug_ranges2:
	.quad	.Ltmp59-.Lfunc_begin0
	.quad	.Ltmp60-.Lfunc_begin0
	.quad	.Ltmp61-.Lfunc_begin0
	.quad	.Ltmp62-.Lfunc_begin0
	.quad	.Ltmp63-.Lfunc_begin0
	.quad	.Ltmp64-.Lfunc_begin0
	.quad	.Ltmp65-.Lfunc_begin0
	.quad	.Ltmp66-.Lfunc_begin0
	.quad	.Ltmp67-.Lfunc_begin0
	.quad	.Ltmp68-.Lfunc_begin0
	.quad	.Ltmp69-.Lfunc_begin0
	.quad	.Ltmp70-.Lfunc_begin0
	.quad	.Ltmp71-.Lfunc_begin0
	.quad	.Ltmp72-.Lfunc_begin0
	.quad	.Ltmp73-.Lfunc_begin0
	.quad	.Ltmp74-.Lfunc_begin0
	.quad	.Ltmp75-.Lfunc_begin0
	.quad	.Ltmp76-.Lfunc_begin0
	.quad	.Ltmp77-.Lfunc_begin0
	.quad	.Ltmp78-.Lfunc_begin0
	.quad	.Ltmp79-.Lfunc_begin0
	.quad	.Ltmp80-.Lfunc_begin0
	.quad	.Ltmp81-.Lfunc_begin0
	.quad	.Ltmp82-.Lfunc_begin0
	.quad	.Ltmp83-.Lfunc_begin0
	.quad	.Ltmp84-.Lfunc_begin0
	.quad	.Ltmp85-.Lfunc_begin0
	.quad	.Ltmp86-.Lfunc_begin0
	.quad	.Ltmp87-.Lfunc_begin0
	.quad	.Ltmp88-.Lfunc_begin0
	.quad	.Ltmp89-.Lfunc_begin0
	.quad	.Ltmp90-.Lfunc_begin0
	.quad	.Ltmp128-.Lfunc_begin0
	.quad	.Ltmp129-.Lfunc_begin0
	.quad	.Ltmp130-.Lfunc_begin0
	.quad	.Ltmp131-.Lfunc_begin0
	.quad	.Ltmp132-.Lfunc_begin0
	.quad	.Ltmp133-.Lfunc_begin0
	.quad	.Ltmp134-.Lfunc_begin0
	.quad	.Ltmp135-.Lfunc_begin0
	.quad	.Ltmp136-.Lfunc_begin0
	.quad	.Ltmp137-.Lfunc_begin0
	.quad	.Ltmp138-.Lfunc_begin0
	.quad	.Ltmp139-.Lfunc_begin0
	.quad	.Ltmp140-.Lfunc_begin0
	.quad	.Ltmp141-.Lfunc_begin0
	.quad	.Ltmp142-.Lfunc_begin0
	.quad	.Ltmp143-.Lfunc_begin0
	.quad	.Ltmp144-.Lfunc_begin0
	.quad	.Ltmp145-.Lfunc_begin0
	.quad	.Ltmp146-.Lfunc_begin0
	.quad	.Ltmp147-.Lfunc_begin0
	.quad	.Ltmp148-.Lfunc_begin0
	.quad	.Ltmp149-.Lfunc_begin0
	.quad	.Ltmp150-.Lfunc_begin0
	.quad	.Ltmp151-.Lfunc_begin0
	.quad	.Ltmp152-.Lfunc_begin0
	.quad	.Ltmp153-.Lfunc_begin0
	.quad	.Ltmp154-.Lfunc_begin0
	.quad	.Ltmp155-.Lfunc_begin0
	.quad	.Ltmp156-.Lfunc_begin0
	.quad	.Ltmp157-.Lfunc_begin0
	.quad	.Ltmp200-.Lfunc_begin0
	.quad	.Ltmp201-.Lfunc_begin0
	.quad	.Ltmp202-.Lfunc_begin0
	.quad	.Ltmp203-.Lfunc_begin0
	.quad	.Ltmp204-.Lfunc_begin0
	.quad	.Ltmp205-.Lfunc_begin0
	.quad	.Ltmp206-.Lfunc_begin0
	.quad	.Ltmp207-.Lfunc_begin0
	.quad	.Ltmp208-.Lfunc_begin0
	.quad	.Ltmp209-.Lfunc_begin0
	.quad	.Ltmp210-.Lfunc_begin0
	.quad	.Ltmp211-.Lfunc_begin0
	.quad	.Ltmp212-.Lfunc_begin0
	.quad	.Ltmp213-.Lfunc_begin0
	.quad	.Ltmp214-.Lfunc_begin0
	.quad	.Ltmp215-.Lfunc_begin0
	.quad	.Ltmp216-.Lfunc_begin0
	.quad	.Ltmp217-.Lfunc_begin0
	.quad	.Ltmp218-.Lfunc_begin0
	.quad	.Ltmp219-.Lfunc_begin0
	.quad	.Ltmp220-.Lfunc_begin0
	.quad	.Ltmp221-.Lfunc_begin0
	.quad	.Ltmp222-.Lfunc_begin0
	.quad	.Ltmp223-.Lfunc_begin0
	.quad	.Ltmp224-.Lfunc_begin0
	.quad	.Ltmp225-.Lfunc_begin0
	.quad	0
	.quad	0
.Ldebug_ranges3:
	.quad	.Ltmp92-.Lfunc_begin0
	.quad	.Ltmp93-.Lfunc_begin0
	;; [unrolled: 1-line block ×132, first 2 shown]
	.quad	0
	.quad	0
.Ldebug_ranges4:
	.quad	.Ltmp92-.Lfunc_begin0
	.quad	.Ltmp93-.Lfunc_begin0
	.quad	.Ltmp94-.Lfunc_begin0
	.quad	.Ltmp95-.Lfunc_begin0
	.quad	.Ltmp96-.Lfunc_begin0
	.quad	.Ltmp97-.Lfunc_begin0
	.quad	.Ltmp98-.Lfunc_begin0
	.quad	.Ltmp99-.Lfunc_begin0
	.quad	.Ltmp100-.Lfunc_begin0
	.quad	.Ltmp101-.Lfunc_begin0
	.quad	.Ltmp102-.Lfunc_begin0
	.quad	.Ltmp103-.Lfunc_begin0
	.quad	.Ltmp104-.Lfunc_begin0
	.quad	.Ltmp105-.Lfunc_begin0
	.quad	.Ltmp106-.Lfunc_begin0
	.quad	.Ltmp107-.Lfunc_begin0
	.quad	.Ltmp108-.Lfunc_begin0
	.quad	.Ltmp109-.Lfunc_begin0
	.quad	.Ltmp110-.Lfunc_begin0
	.quad	.Ltmp111-.Lfunc_begin0
	.quad	.Ltmp112-.Lfunc_begin0
	.quad	.Ltmp113-.Lfunc_begin0
	.quad	.Ltmp114-.Lfunc_begin0
	.quad	.Ltmp115-.Lfunc_begin0
	.quad	.Ltmp116-.Lfunc_begin0
	.quad	.Ltmp117-.Lfunc_begin0
	.quad	.Ltmp118-.Lfunc_begin0
	.quad	.Ltmp119-.Lfunc_begin0
	.quad	.Ltmp120-.Lfunc_begin0
	.quad	.Ltmp121-.Lfunc_begin0
	.quad	.Ltmp122-.Lfunc_begin0
	.quad	.Ltmp123-.Lfunc_begin0
	.quad	.Ltmp124-.Lfunc_begin0
	.quad	.Ltmp125-.Lfunc_begin0
	.quad	.Ltmp126-.Lfunc_begin0
	.quad	.Ltmp127-.Lfunc_begin0
	.quad	.Ltmp159-.Lfunc_begin0
	.quad	.Ltmp160-.Lfunc_begin0
	.quad	.Ltmp161-.Lfunc_begin0
	.quad	.Ltmp162-.Lfunc_begin0
	.quad	.Ltmp163-.Lfunc_begin0
	.quad	.Ltmp164-.Lfunc_begin0
	.quad	.Ltmp165-.Lfunc_begin0
	.quad	.Ltmp166-.Lfunc_begin0
	.quad	.Ltmp167-.Lfunc_begin0
	.quad	.Ltmp168-.Lfunc_begin0
	.quad	.Ltmp169-.Lfunc_begin0
	.quad	.Ltmp170-.Lfunc_begin0
	.quad	.Ltmp171-.Lfunc_begin0
	.quad	.Ltmp172-.Lfunc_begin0
	.quad	.Ltmp173-.Lfunc_begin0
	.quad	.Ltmp174-.Lfunc_begin0
	.quad	.Ltmp175-.Lfunc_begin0
	.quad	.Ltmp176-.Lfunc_begin0
	.quad	.Ltmp177-.Lfunc_begin0
	.quad	.Ltmp178-.Lfunc_begin0
	.quad	.Ltmp179-.Lfunc_begin0
	.quad	.Ltmp180-.Lfunc_begin0
	.quad	.Ltmp181-.Lfunc_begin0
	.quad	.Ltmp182-.Lfunc_begin0
	.quad	.Ltmp183-.Lfunc_begin0
	.quad	.Ltmp184-.Lfunc_begin0
	.quad	.Ltmp185-.Lfunc_begin0
	.quad	.Ltmp186-.Lfunc_begin0
	.quad	.Ltmp187-.Lfunc_begin0
	.quad	.Ltmp188-.Lfunc_begin0
	.quad	.Ltmp189-.Lfunc_begin0
	.quad	.Ltmp190-.Lfunc_begin0
	.quad	.Ltmp191-.Lfunc_begin0
	.quad	.Ltmp192-.Lfunc_begin0
	.quad	.Ltmp193-.Lfunc_begin0
	.quad	.Ltmp194-.Lfunc_begin0
	.quad	.Ltmp196-.Lfunc_begin0
	.quad	.Ltmp197-.Lfunc_begin0
	.quad	.Ltmp227-.Lfunc_begin0
	.quad	.Ltmp228-.Lfunc_begin0
	.quad	.Ltmp229-.Lfunc_begin0
	.quad	.Ltmp230-.Lfunc_begin0
	.quad	.Ltmp231-.Lfunc_begin0
	.quad	.Ltmp232-.Lfunc_begin0
	.quad	.Ltmp233-.Lfunc_begin0
	.quad	.Ltmp234-.Lfunc_begin0
	.quad	.Ltmp235-.Lfunc_begin0
	.quad	.Ltmp236-.Lfunc_begin0
	.quad	.Ltmp237-.Lfunc_begin0
	.quad	.Ltmp238-.Lfunc_begin0
	.quad	.Ltmp239-.Lfunc_begin0
	.quad	.Ltmp240-.Lfunc_begin0
	.quad	.Ltmp241-.Lfunc_begin0
	.quad	.Ltmp242-.Lfunc_begin0
	.quad	.Ltmp243-.Lfunc_begin0
	.quad	.Ltmp244-.Lfunc_begin0
	.quad	.Ltmp245-.Lfunc_begin0
	.quad	.Ltmp246-.Lfunc_begin0
	.quad	.Ltmp247-.Lfunc_begin0
	.quad	.Ltmp248-.Lfunc_begin0
	.quad	.Ltmp249-.Lfunc_begin0
	.quad	.Ltmp250-.Lfunc_begin0
	.quad	.Ltmp251-.Lfunc_begin0
	.quad	.Ltmp252-.Lfunc_begin0
	.quad	.Ltmp253-.Lfunc_begin0
	.quad	.Ltmp254-.Lfunc_begin0
	.quad	.Ltmp255-.Lfunc_begin0
	.quad	.Ltmp256-.Lfunc_begin0
	.quad	.Ltmp257-.Lfunc_begin0
	.quad	.Ltmp258-.Lfunc_begin0
	.quad	.Ltmp259-.Lfunc_begin0
	.quad	.Ltmp260-.Lfunc_begin0
	.quad	.Ltmp261-.Lfunc_begin0
	.quad	.Ltmp262-.Lfunc_begin0
	.quad	.Ltmp263-.Lfunc_begin0
	.quad	.Ltmp264-.Lfunc_begin0
	.quad	.Ltmp265-.Lfunc_begin0
	.quad	.Ltmp266-.Lfunc_begin0
	.quad	.Ltmp267-.Lfunc_begin0
	.quad	.Ltmp268-.Lfunc_begin0
	.quad	.Ltmp269-.Lfunc_begin0
	.quad	.Ltmp270-.Lfunc_begin0
	.quad	.Ltmp271-.Lfunc_begin0
	.quad	.Ltmp272-.Lfunc_begin0
	.quad	.Ltmp273-.Lfunc_begin0
	.quad	.Ltmp274-.Lfunc_begin0
	.quad	.Ltmp275-.Lfunc_begin0
	.quad	.Ltmp276-.Lfunc_begin0
	.quad	.Ltmp277-.Lfunc_begin0
	.quad	.Ltmp278-.Lfunc_begin0
	.quad	.Ltmp279-.Lfunc_begin0
	.quad	.Ltmp280-.Lfunc_begin0
	.quad	.Ltmp285-.Lfunc_begin0
	.quad	.Ltmp286-.Lfunc_begin0
	.quad	0
	.quad	0
.Ldebug_ranges5:
	.quad	.Ltmp287-.Lfunc_begin0
	.quad	.Ltmp288-.Lfunc_begin0
	;; [unrolled: 1-line block ×14, first 2 shown]
	.quad	0
	.quad	0
.Ldebug_ranges6:
	.quad	.Ltmp298-.Lfunc_begin0
	.quad	.Ltmp299-.Lfunc_begin0
	;; [unrolled: 1-line block ×58, first 2 shown]
	.quad	0
	.quad	0
.Ldebug_ranges7:
	.quad	.Ltmp298-.Lfunc_begin0
	.quad	.Ltmp299-.Lfunc_begin0
	;; [unrolled: 1-line block ×58, first 2 shown]
	.quad	0
	.quad	0
.Ldebug_ranges8:
	.quad	.Ltmp325-.Lfunc_begin0
	.quad	.Ltmp326-.Lfunc_begin0
	;; [unrolled: 1-line block ×90, first 2 shown]
	.quad	0
	.quad	0
.Ldebug_ranges9:
	.quad	.Ltmp325-.Lfunc_begin0
	.quad	.Ltmp326-.Lfunc_begin0
	;; [unrolled: 1-line block ×92, first 2 shown]
	.quad	0
	.quad	0
	.section	.debug_str,"MS",@progbits,1
.Linfo_string0:
	.asciz	"triton"                        ; string offset=0
.Linfo_string1:
	.asciz	"attention_aot.py"              ; string offset=7
.Linfo_string2:
	.asciz	"/root/src/amdgpu-assembly/repos/FlagOpen__FlagGems/triton_aot_kernels" ; string offset=24
.Linfo_string3:
	.asciz	"_attn_fwd"                     ; string offset=94
	.section	".note.GNU-stack","",@progbits
	.amdgpu_metadata
---
amdhsa.kernels:
  - .agpr_count:     0
    .args:
      - .address_space:  global
        .offset:         0
        .size:           8
        .value_kind:     global_buffer
      - .address_space:  global
        .offset:         8
        .size:           8
        .value_kind:     global_buffer
      - .address_space:  global
        .offset:         16
        .size:           8
        .value_kind:     global_buffer
      - .address_space:  global
        .offset:         24
        .size:           8
        .value_kind:     global_buffer
      - .offset:         32
        .size:           4
        .value_kind:     by_value
      - .address_space:  global
        .offset:         40
        .size:           8
        .value_kind:     global_buffer
      - .address_space:  global
        .offset:         48
        .size:           8
        .value_kind:     global_buffer
      - .offset:         56
        .size:           4
        .value_kind:     by_value
      - .offset:         60
        .size:           4
        .value_kind:     by_value
      - .offset:         64
        .size:           4
        .value_kind:     by_value
      - .offset:         68
        .size:           4
        .value_kind:     by_value
      - .offset:         72
        .size:           4
        .value_kind:     by_value
      - .offset:         76
        .size:           4
        .value_kind:     by_value
      - .offset:         80
        .size:           4
        .value_kind:     by_value
      - .offset:         84
        .size:           4
        .value_kind:     by_value
      - .offset:         88
        .size:           4
        .value_kind:     by_value
      - .offset:         92
        .size:           4
        .value_kind:     by_value
      - .offset:         96
        .size:           4
        .value_kind:     by_value
      - .offset:         100
        .size:           4
        .value_kind:     by_value
      - .offset:         104
        .size:           4
        .value_kind:     by_value
      - .offset:         108
        .size:           4
        .value_kind:     by_value
      - .offset:         112
        .size:           4
        .value_kind:     by_value
      - .offset:         116
        .size:           4
        .value_kind:     by_value
      - .offset:         120
        .size:           4
        .value_kind:     by_value
      - .offset:         124
        .size:           4
        .value_kind:     by_value
      - .offset:         128
        .size:           4
        .value_kind:     by_value
      - .offset:         132
        .size:           4
        .value_kind:     by_value
      - .offset:         136
        .size:           4
        .value_kind:     by_value
      - .offset:         140
        .size:           4
        .value_kind:     by_value
      - .offset:         144
        .size:           4
        .value_kind:     by_value
      - .offset:         148
        .size:           4
        .value_kind:     by_value
      - .offset:         152
        .size:           4
        .value_kind:     by_value
      - .address_space:  global
        .offset:         160
        .size:           8
        .value_kind:     global_buffer
      - .address_space:  global
        .offset:         168
        .size:           8
        .value_kind:     global_buffer
    .group_segment_fixed_size: 0
    .kernarg_segment_align: 8
    .kernarg_segment_size: 176
    .max_flat_workgroup_size: 512
    .name:           _attn_fwd
    .private_segment_fixed_size: 100
    .sgpr_count:     92
    .sgpr_spill_count: 0
    .symbol:         _attn_fwd.kd
    .uniform_work_group_size: 1
    .uses_dynamic_stack: false
    .vgpr_count:     256
    .vgpr_spill_count: 24
    .wavefront_size: 64
amdhsa.target:   amdgcn-amd-amdhsa--gfx950
amdhsa.version:
  - 1
  - 2
...

	.end_amdgpu_metadata
	.section	.debug_line,"",@progbits
.Lline_table_start0:
